;; amdgpu-corpus repo=ggml-org/llama.cpp kind=compiled arch=gfx1030 opt=O3
	.amdgcn_target "amdgcn-amd-amdhsa--gfx1030"
	.amdhsa_code_object_version 6
	.section	.text._ZL15flash_attn_tileILi576ELi512ELi2ELi16ELb0EEvPKcS1_S1_S1_S1_PKiPfP15HIP_vector_typeIfLj2EEffffjfiS5_IjLj3EEiiiiiiiiiiiliiliiiiil,"axG",@progbits,_ZL15flash_attn_tileILi576ELi512ELi2ELi16ELb0EEvPKcS1_S1_S1_S1_PKiPfP15HIP_vector_typeIfLj2EEffffjfiS5_IjLj3EEiiiiiiiiiiiliiliiiiil,comdat
	.globl	_ZL15flash_attn_tileILi576ELi512ELi2ELi16ELb0EEvPKcS1_S1_S1_S1_PKiPfP15HIP_vector_typeIfLj2EEffffjfiS5_IjLj3EEiiiiiiiiiiiliiliiiiil ; -- Begin function _ZL15flash_attn_tileILi576ELi512ELi2ELi16ELb0EEvPKcS1_S1_S1_S1_PKiPfP15HIP_vector_typeIfLj2EEffffjfiS5_IjLj3EEiiiiiiiiiiiliiliiiiil
	.p2align	8
	.type	_ZL15flash_attn_tileILi576ELi512ELi2ELi16ELb0EEvPKcS1_S1_S1_S1_PKiPfP15HIP_vector_typeIfLj2EEffffjfiS5_IjLj3EEiiiiiiiiiiiliiliiiiil,@function
_ZL15flash_attn_tileILi576ELi512ELi2ELi16ELb0EEvPKcS1_S1_S1_S1_PKiPfP15HIP_vector_typeIfLj2EEffffjfiS5_IjLj3EEiiiiiiiiiiiliiliiiiil: ; @_ZL15flash_attn_tileILi576ELi512ELi2ELi16ELb0EEvPKcS1_S1_S1_S1_PKiPfP15HIP_vector_typeIfLj2EEffffjfiS5_IjLj3EEiiiiiiiiiiiliiliiiiil
; %bb.0:
	s_clause 0x1
	s_load_dwordx4 s[0:3], s[4:5], 0x5c
	s_load_dwordx2 s[30:31], s[4:5], 0x80
	s_mov_b32 s28, s7
	s_mov_b64 s[34:35], 0
	s_waitcnt lgkmcnt(0)
	s_ashr_i32 s7, s3, 31
	s_lshr_b32 s7, s7, 28
	s_add_i32 s7, s3, s7
	s_ashr_i32 s7, s7, 4
	v_cvt_f32_u32_e32 v2, s7
	s_sub_i32 s10, 0, s7
	v_rcp_iflag_f32_e32 v2, v2
	v_mul_f32_e32 v2, 0x4f7ffffe, v2
	v_cvt_u32_f32_e32 v2, v2
	v_readfirstlane_b32 s9, v2
	s_mul_i32 s10, s10, s9
	s_mul_hi_u32 s10, s9, s10
	s_add_i32 s9, s9, s10
	s_mul_hi_u32 s9, s8, s9
	s_mul_i32 s10, s9, s7
	s_add_i32 s11, s9, 1
	s_sub_i32 s10, s8, s10
	s_sub_i32 s12, s10, s7
	s_cmp_ge_u32 s10, s7
	s_cselect_b32 s9, s11, s9
	s_cselect_b32 s10, s12, s10
	s_add_i32 s11, s9, 1
	s_cmp_ge_u32 s10, s7
	s_cselect_b32 s33, s11, s9
	s_abs_i32 s7, s31
	s_lshl_b32 s8, s8, 4
	v_cvt_f32_u32_e32 v2, s7
	s_sub_i32 s10, 0, s7
	s_mul_i32 s11, s33, s3
	s_abs_i32 s12, s3
	s_sub_i32 s29, s8, s11
	v_rcp_iflag_f32_e32 v2, v2
	v_mul_f32_e32 v2, 0x4f7ffffe, v2
	v_cvt_u32_f32_e32 v2, v2
	v_readfirstlane_b32 s9, v2
	s_mul_i32 s10, s10, s9
	s_mul_hi_u32 s10, s9, s10
	s_add_i32 s9, s9, s10
	s_mul_hi_u32 s8, s12, s9
	s_xor_b32 s9, s3, s31
	s_mul_i32 s10, s8, s7
	s_ashr_i32 s9, s9, 31
	s_sub_i32 s10, s12, s10
	s_add_i32 s11, s8, 1
	s_sub_i32 s12, s10, s7
	s_cmp_ge_u32 s10, s7
	s_cselect_b32 s8, s11, s8
	s_cselect_b32 s10, s12, s10
	s_add_i32 s11, s8, 1
	s_cmp_ge_u32 s10, s7
	s_cselect_b32 s7, s11, s8
	s_xor_b32 s7, s7, s9
	s_sub_i32 s31, s7, s9
	s_clause 0x1
	s_load_dwordx16 s[8:23], s[4:5], 0x0
	s_load_dwordx2 s[36:37], s[4:5], 0xb8
	s_abs_i32 s7, s31
	v_cvt_f32_u32_e32 v2, s7
	v_rcp_iflag_f32_e32 v2, v2
	v_mul_f32_e32 v2, 0x4f7ffffe, v2
	s_waitcnt lgkmcnt(0)
	s_cmp_eq_u64 s[14:15], 0
	v_cvt_u32_f32_e32 v2, v2
	v_readfirstlane_b32 s38, v2
	s_cbranch_scc1 .LBB0_2
; %bb.1:
	s_abs_i32 s26, s36
	s_abs_i32 s27, s33
	v_cvt_f32_u32_e32 v2, s26
	s_sub_i32 s25, 0, s26
	v_rcp_iflag_f32_e32 v2, v2
	v_mul_f32_e32 v2, 0x4f7ffffe, v2
	v_cvt_u32_f32_e32 v2, v2
	v_readfirstlane_b32 s24, v2
	s_mul_i32 s25, s25, s24
	s_mul_hi_u32 s25, s24, s25
	s_add_i32 s24, s24, s25
	s_mul_hi_u32 s34, s27, s24
	s_load_dwordx2 s[24:25], s[4:5], 0xc8
	s_mul_i32 s34, s34, s26
	s_sub_i32 s27, s27, s34
	s_ashr_i32 s34, s33, 31
	s_sub_i32 s35, s27, s26
	s_cmp_ge_u32 s27, s26
	s_cselect_b32 s27, s35, s27
	s_sub_i32 s35, s27, s26
	s_cmp_ge_u32 s27, s26
	s_cselect_b32 s26, s35, s27
	s_xor_b32 s26, s26, s34
	s_sub_i32 s26, s26, s34
	s_ashr_i32 s27, s26, 31
	s_waitcnt lgkmcnt(0)
	s_mul_hi_u32 s34, s24, s26
	s_mul_i32 s27, s24, s27
	s_mul_i32 s25, s25, s26
	s_add_i32 s27, s34, s27
	s_mul_i32 s24, s24, s26
	s_add_i32 s27, s27, s25
	s_add_u32 s34, s14, s24
	s_addc_u32 s35, s15, s27
.LBB0_2:
	v_lshrrev_b32_e32 v2, 2, v1
	s_load_dwordx4 s[24:27], s[4:5], 0x70
	v_lshlrev_b32_e32 v5, 2, v1
	v_lshlrev_b32_e32 v8, 4, v0
	;; [unrolled: 1-line block ×3, first 2 shown]
	v_lshl_add_u32 v17, s6, 1, v2
	v_mul_u32_u24_e32 v34, 0x1200, v1
	v_and_b32_e32 v31, 12, v5
	v_mad_u32_u24 v16, 0x1200, v1, v33
	v_mul_hi_u32 v2, s0, v17
	v_add_nc_u32_e32 v2, v17, v2
	s_waitcnt lgkmcnt(0)
	s_mul_i32 s14, s29, s25
	s_mov_b32 s0, s25
	v_lshrrev_b32_e32 v2, s1, v2
	s_mul_i32 s1, s33, s26
	s_ashr_i32 s15, s1, 31
	s_add_u32 s1, s8, s1
	v_mul_lo_u32 v2, v2, s2
	s_addc_u32 s8, s9, s15
	s_ashr_i32 s9, s14, 31
	s_add_u32 s14, s1, s14
	s_addc_u32 s15, s8, s9
	s_ashr_i32 s1, s25, 31
	s_ashr_i32 s25, s24, 31
	s_lshr_b64 s[8:9], s[24:25], 2
	v_sub_nc_u32_e32 v4, v17, v2
	v_mad_u64_u32 v[2:3], null, s8, v4, 0
	s_lshr_b32 s8, s25, 2
	v_mad_u64_u32 v[6:7], null, s8, v4, v[3:4]
	s_lshr_b64 s[8:9], s[0:1], 2
	v_mov_b32_e32 v3, v6
	v_mad_u64_u32 v[6:7], null, s8, v31, 0
	v_lshlrev_b64 v[2:3], 2, v[2:3]
	v_mad_i32_i24 v7, s1, v31, v7
	s_load_dword s1, s[4:5], 0x40
	v_add_co_u32 v9, vcc_lo, s14, v2
	v_add_co_ci_u32_e64 v10, null, s15, v3, vcc_lo
	v_lshlrev_b64 v[2:3], 2, v[6:7]
	v_add_co_u32 v6, vcc_lo, v9, v8
	v_add_co_ci_u32_e64 v7, null, 0, v10, vcc_lo
	v_add_co_u32 v2, vcc_lo, v6, v2
	v_add_co_ci_u32_e64 v3, null, v7, v3, vcc_lo
	v_cmp_gt_u32_e32 vcc_lo, 16, v0
	s_clause 0x3
	global_load_dwordx4 v[8:11], v[2:3], off
	global_load_dwordx4 v[12:15], v[2:3], off offset:512
	global_load_dwordx4 v[18:21], v[2:3], off offset:1024
	;; [unrolled: 1-line block ×3, first 2 shown]
	s_waitcnt vmcnt(3) lgkmcnt(0)
	v_fma_mixlo_f16 v8, s1, v8, 0
	v_fma_mixlo_f16 v9, s1, v9, 0
	;; [unrolled: 1-line block ×4, first 2 shown]
	s_waitcnt vmcnt(2)
	v_fma_mixlo_f16 v12, s1, v12, 0
	v_fma_mixlo_f16 v13, s1, v13, 0
	;; [unrolled: 1-line block ×4, first 2 shown]
	s_waitcnt vmcnt(1)
	v_fma_mixlo_f16 v18, s1, v18, 0
	v_fma_mixlo_f16 v19, s1, v19, 0
	s_waitcnt vmcnt(0)
	v_fma_mixlo_f16 v22, s1, v22, 0
	v_fma_mixlo_f16 v23, s1, v23, 0
	v_lshlrev_b32_e32 v9, 16, v9
	v_and_b32_e32 v8, 0xffff, v8
	v_lshlrev_b32_e32 v11, 16, v11
	v_and_b32_e32 v10, 0xffff, v10
	;; [unrolled: 2-line block ×3, first 2 shown]
	v_fma_mixlo_f16 v20, s1, v20, 0
	v_fma_mixlo_f16 v21, s1, v21, 0
	;; [unrolled: 1-line block ×4, first 2 shown]
	v_lshlrev_b32_e32 v15, 16, v15
	v_and_b32_e32 v14, 0xffff, v14
	v_lshlrev_b32_e32 v19, 16, v19
	v_and_b32_e32 v18, 0xffff, v18
	;; [unrolled: 2-line block ×3, first 2 shown]
	v_or_b32_e32 v8, v9, v8
	v_or3_b32 v9, v11, v10, 0
	v_or_b32_e32 v10, v13, v12
	v_lshlrev_b32_e32 v21, 16, v21
	v_and_b32_e32 v20, 0xffff, v20
	v_lshlrev_b32_e32 v25, 16, v25
	v_and_b32_e32 v24, 0xffff, v24
	v_or3_b32 v11, v15, v14, 0
	v_or_b32_e32 v12, v19, v18
	v_or_b32_e32 v14, v23, v22
	v_or3_b32 v8, 0, 0, v8
	v_or3_b32 v10, 0, 0, v10
	;; [unrolled: 1-line block ×6, first 2 shown]
	ds_write2_b64 v16, v[8:9], v[10:11] offset1:32
	ds_write2_b64 v16, v[12:13], v[14:15] offset0:64 offset1:96
	s_and_saveexec_b32 s14, vcc_lo
	s_cbranch_execz .LBB0_4
; %bb.3:
	v_add_co_u32 v2, s0, 0x800, v2
	v_add_co_ci_u32_e64 v3, null, 0, v3, s0
	global_load_dwordx4 v[8:11], v[2:3], off
	s_waitcnt vmcnt(0)
	v_fma_mixlo_f16 v2, s1, v9, 0
	v_fma_mixlo_f16 v3, s1, v8, 0
	;; [unrolled: 1-line block ×4, first 2 shown]
	v_lshlrev_b32_e32 v2, 16, v2
	v_and_b32_e32 v3, 0xffff, v3
	v_and_b32_e32 v8, 0xffff, v8
	v_lshlrev_b32_e32 v9, 16, v9
	v_or_b32_e32 v2, v2, v3
	v_or3_b32 v3, v9, v8, 0
	v_add_nc_u32_e32 v8, v33, v34
	v_or3_b32 v2, 0, 0, v2
	ds_write_b64 v8, v[2:3] offset:1024
.LBB0_4:
	s_or_b32 exec_lo, exec_lo, s14
	v_or_b32_e32 v16, 1, v5
	v_and_b32_e32 v8, 13, v16
	v_mul_u32_u24_e32 v26, 0x480, v16
	v_mad_u32_u24 v27, 0x480, v16, v33
	v_mad_u64_u32 v[2:3], null, s8, v8, 0
	v_mad_u64_u32 v[8:9], null, s9, v8, v[3:4]
	v_mov_b32_e32 v3, v8
	v_lshlrev_b64 v[2:3], 2, v[2:3]
	v_add_co_u32 v2, s0, v6, v2
	v_add_co_ci_u32_e64 v3, null, v7, v3, s0
	s_clause 0x3
	global_load_dwordx4 v[8:11], v[2:3], off
	global_load_dwordx4 v[12:15], v[2:3], off offset:512
	global_load_dwordx4 v[18:21], v[2:3], off offset:1024
	;; [unrolled: 1-line block ×3, first 2 shown]
	s_waitcnt vmcnt(3)
	v_fma_mixlo_f16 v8, s1, v8, 0
	v_fma_mixlo_f16 v9, s1, v9, 0
	v_fma_mixlo_f16 v10, s1, v10, 0
	v_fma_mixlo_f16 v11, s1, v11, 0
	s_waitcnt vmcnt(2)
	v_fma_mixlo_f16 v12, s1, v12, 0
	v_fma_mixlo_f16 v13, s1, v13, 0
	v_fma_mixlo_f16 v14, s1, v14, 0
	v_fma_mixlo_f16 v15, s1, v15, 0
	;; [unrolled: 5-line block ×3, first 2 shown]
	s_waitcnt vmcnt(0)
	v_fma_mixlo_f16 v21, s1, v22, 0
	v_fma_mixlo_f16 v22, s1, v23, 0
	v_lshlrev_b32_e32 v9, 16, v9
	v_and_b32_e32 v8, 0xffff, v8
	v_lshlrev_b32_e32 v11, 16, v11
	v_and_b32_e32 v10, 0xffff, v10
	;; [unrolled: 2-line block ×3, first 2 shown]
	v_fma_mixlo_f16 v23, s1, v24, 0
	v_fma_mixlo_f16 v24, s1, v25, 0
	v_lshlrev_b32_e32 v15, 16, v15
	v_and_b32_e32 v14, 0xffff, v14
	v_lshlrev_b32_e32 v18, 16, v18
	v_and_b32_e32 v16, 0xffff, v16
	;; [unrolled: 2-line block ×3, first 2 shown]
	v_or_b32_e32 v8, v9, v8
	v_or3_b32 v10, v11, v10, 0
	v_or_b32_e32 v11, v13, v12
	v_lshlrev_b32_e32 v20, 16, v20
	v_and_b32_e32 v19, 0xffff, v19
	v_lshlrev_b32_e32 v24, 16, v24
	v_and_b32_e32 v23, 0xffff, v23
	v_or3_b32 v12, v15, v14, 0
	v_or_b32_e32 v13, v18, v16
	v_or_b32_e32 v15, v22, v21
	v_or3_b32 v9, 0, 0, v8
	v_or3_b32 v11, 0, 0, v11
	v_add_nc_u32_e32 v8, v33, v26
	v_or3_b32 v14, v20, v19, 0
	v_or3_b32 v16, v24, v23, 0
	;; [unrolled: 1-line block ×4, first 2 shown]
	ds_write2_b64 v27, v[9:10], v[11:12] offset1:32
	ds_write2_b64 v27, v[13:14], v[15:16] offset0:64 offset1:96
	s_and_saveexec_b32 s14, vcc_lo
	s_cbranch_execz .LBB0_6
; %bb.5:
	v_add_co_u32 v2, s0, 0x800, v2
	v_add_co_ci_u32_e64 v3, null, 0, v3, s0
	global_load_dwordx4 v[9:12], v[2:3], off
	s_waitcnt vmcnt(0)
	v_fma_mixlo_f16 v2, s1, v10, 0
	v_fma_mixlo_f16 v3, s1, v9, 0
	;; [unrolled: 1-line block ×4, first 2 shown]
	v_lshlrev_b32_e32 v2, 16, v2
	v_and_b32_e32 v3, 0xffff, v3
	v_and_b32_e32 v9, 0xffff, v9
	v_lshlrev_b32_e32 v10, 16, v10
	v_or_b32_e32 v2, v2, v3
	v_or3_b32 v3, v10, v9, 0
	v_or3_b32 v2, 0, 0, v2
	ds_write_b64 v8, v[2:3] offset:1024
.LBB0_6:
	s_or_b32 exec_lo, exec_lo, s14
	v_or_b32_e32 v2, 2, v5
	v_and_b32_e32 v9, 14, v2
	v_mad_u64_u32 v[2:3], null, s8, v9, 0
	v_mad_u64_u32 v[9:10], null, s9, v9, v[3:4]
	v_mov_b32_e32 v3, v9
	v_lshlrev_b64 v[2:3], 2, v[2:3]
	v_add_co_u32 v2, s0, v6, v2
	v_add_co_ci_u32_e64 v3, null, v7, v3, s0
	s_clause 0x3
	global_load_dwordx4 v[9:12], v[2:3], off
	global_load_dwordx4 v[13:16], v[2:3], off offset:512
	global_load_dwordx4 v[18:21], v[2:3], off offset:1024
	global_load_dwordx4 v[22:25], v[2:3], off offset:1536
	s_waitcnt vmcnt(3)
	v_fma_mixlo_f16 v9, s1, v9, 0
	v_fma_mixlo_f16 v10, s1, v10, 0
	;; [unrolled: 1-line block ×4, first 2 shown]
	s_waitcnt vmcnt(2)
	v_fma_mixlo_f16 v13, s1, v13, 0
	v_fma_mixlo_f16 v14, s1, v14, 0
	v_fma_mixlo_f16 v15, s1, v15, 0
	v_fma_mixlo_f16 v16, s1, v16, 0
	s_waitcnt vmcnt(1)
	v_fma_mixlo_f16 v18, s1, v18, 0
	v_fma_mixlo_f16 v19, s1, v19, 0
	s_waitcnt vmcnt(0)
	v_fma_mixlo_f16 v22, s1, v22, 0
	v_fma_mixlo_f16 v23, s1, v23, 0
	v_lshlrev_b32_e32 v10, 16, v10
	v_and_b32_e32 v9, 0xffff, v9
	v_lshlrev_b32_e32 v12, 16, v12
	v_and_b32_e32 v11, 0xffff, v11
	;; [unrolled: 2-line block ×3, first 2 shown]
	v_fma_mixlo_f16 v20, s1, v20, 0
	v_fma_mixlo_f16 v21, s1, v21, 0
	;; [unrolled: 1-line block ×4, first 2 shown]
	v_lshlrev_b32_e32 v16, 16, v16
	v_and_b32_e32 v15, 0xffff, v15
	v_lshlrev_b32_e32 v19, 16, v19
	v_and_b32_e32 v18, 0xffff, v18
	;; [unrolled: 2-line block ×3, first 2 shown]
	v_or_b32_e32 v9, v10, v9
	v_or3_b32 v10, v12, v11, 0
	v_or_b32_e32 v11, v14, v13
	v_lshlrev_b32_e32 v21, 16, v21
	v_and_b32_e32 v20, 0xffff, v20
	v_lshlrev_b32_e32 v25, 16, v25
	v_and_b32_e32 v24, 0xffff, v24
	v_or3_b32 v12, v16, v15, 0
	v_or_b32_e32 v13, v19, v18
	v_or_b32_e32 v15, v23, v22
	v_or3_b32 v9, 0, 0, v9
	v_or3_b32 v11, 0, 0, v11
	;; [unrolled: 1-line block ×6, first 2 shown]
	ds_write2_b64 v8, v[9:10], v[11:12] offset0:144 offset1:176
	ds_write2_b64 v8, v[13:14], v[15:16] offset0:208 offset1:240
	s_and_saveexec_b32 s14, vcc_lo
	s_cbranch_execz .LBB0_8
; %bb.7:
	v_add_co_u32 v2, s0, 0x800, v2
	v_add_co_ci_u32_e64 v3, null, 0, v3, s0
	global_load_dwordx4 v[9:12], v[2:3], off
	s_waitcnt vmcnt(0)
	v_fma_mixlo_f16 v2, s1, v10, 0
	v_fma_mixlo_f16 v3, s1, v9, 0
	;; [unrolled: 1-line block ×4, first 2 shown]
	v_lshlrev_b32_e32 v2, 16, v2
	v_and_b32_e32 v3, 0xffff, v3
	v_and_b32_e32 v9, 0xffff, v9
	v_lshlrev_b32_e32 v10, 16, v10
	v_or_b32_e32 v2, v2, v3
	v_or3_b32 v3, v10, v9, 0
	v_or3_b32 v2, 0, 0, v2
	ds_write_b64 v8, v[2:3] offset:2176
.LBB0_8:
	s_or_b32 exec_lo, exec_lo, s14
	v_or_b32_e32 v2, 3, v5
	v_add_nc_u32_e32 v26, 0x800, v8
	v_and_b32_e32 v9, 15, v2
	v_mad_u64_u32 v[2:3], null, s8, v9, 0
	v_mad_u64_u32 v[9:10], null, s9, v9, v[3:4]
	v_mov_b32_e32 v3, v9
	v_lshlrev_b64 v[2:3], 2, v[2:3]
	v_add_co_u32 v2, s0, v6, v2
	v_add_co_ci_u32_e64 v3, null, v7, v3, s0
	s_clause 0x3
	global_load_dwordx4 v[9:12], v[2:3], off
	global_load_dwordx4 v[13:16], v[2:3], off offset:512
	global_load_dwordx4 v[18:21], v[2:3], off offset:1024
	;; [unrolled: 1-line block ×3, first 2 shown]
	s_waitcnt vmcnt(3)
	v_fma_mixlo_f16 v6, s1, v9, 0
	v_fma_mixlo_f16 v7, s1, v10, 0
	v_fma_mixlo_f16 v9, s1, v11, 0
	v_fma_mixlo_f16 v10, s1, v12, 0
	s_waitcnt vmcnt(2)
	v_fma_mixlo_f16 v11, s1, v13, 0
	v_fma_mixlo_f16 v12, s1, v14, 0
	v_fma_mixlo_f16 v13, s1, v15, 0
	v_fma_mixlo_f16 v14, s1, v16, 0
	;; [unrolled: 5-line block ×3, first 2 shown]
	s_waitcnt vmcnt(0)
	v_fma_mixlo_f16 v20, s1, v22, 0
	v_fma_mixlo_f16 v21, s1, v23, 0
	v_lshlrev_b32_e32 v7, 16, v7
	v_and_b32_e32 v6, 0xffff, v6
	v_lshlrev_b32_e32 v10, 16, v10
	v_and_b32_e32 v9, 0xffff, v9
	;; [unrolled: 2-line block ×3, first 2 shown]
	v_fma_mixlo_f16 v22, s1, v24, 0
	v_fma_mixlo_f16 v23, s1, v25, 0
	v_lshlrev_b32_e32 v14, 16, v14
	v_and_b32_e32 v13, 0xffff, v13
	v_lshlrev_b32_e32 v16, 16, v16
	v_and_b32_e32 v15, 0xffff, v15
	;; [unrolled: 2-line block ×3, first 2 shown]
	v_or_b32_e32 v6, v7, v6
	v_or3_b32 v7, v10, v9, 0
	v_or_b32_e32 v9, v12, v11
	v_lshlrev_b32_e32 v19, 16, v19
	v_and_b32_e32 v18, 0xffff, v18
	v_lshlrev_b32_e32 v23, 16, v23
	v_and_b32_e32 v22, 0xffff, v22
	v_or3_b32 v10, v14, v13, 0
	v_or_b32_e32 v11, v16, v15
	v_or_b32_e32 v13, v21, v20
	v_or3_b32 v6, 0, 0, v6
	v_or3_b32 v9, 0, 0, v9
	;; [unrolled: 1-line block ×6, first 2 shown]
	ds_write2_b64 v26, v[6:7], v[9:10] offset0:32 offset1:64
	ds_write2_b64 v26, v[11:12], v[13:14] offset0:96 offset1:128
	s_and_saveexec_b32 s0, vcc_lo
	s_cbranch_execz .LBB0_10
; %bb.9:
	v_add_co_u32 v2, vcc_lo, 0x800, v2
	v_add_co_ci_u32_e64 v3, null, 0, v3, vcc_lo
	global_load_dwordx4 v[9:12], v[2:3], off
	s_waitcnt vmcnt(0)
	v_fma_mixlo_f16 v2, s1, v10, 0
	v_fma_mixlo_f16 v3, s1, v9, 0
	v_fma_mixlo_f16 v6, s1, v11, 0
	v_fma_mixlo_f16 v7, s1, v12, 0
	v_lshlrev_b32_e32 v2, 16, v2
	v_and_b32_e32 v3, 0xffff, v3
	v_and_b32_e32 v6, 0xffff, v6
	v_lshlrev_b32_e32 v7, 16, v7
	v_or_b32_e32 v2, v2, v3
	v_or3_b32 v3, v7, v6, 0
	v_or3_b32 v2, 0, 0, v2
	ds_write_b64 v8, v[2:3] offset:3328
.LBB0_10:
	s_or_b32 exec_lo, exec_lo, s0
	s_cmp_eq_u64 s[18:19], 0
	s_waitcnt lgkmcnt(0)
	s_barrier
	buffer_gl0_inv
	s_cbranch_scc1 .LBB0_12
; %bb.11:
	s_load_dword s0, s[4:5], 0xd0
	s_mov_b32 s1, 0
	s_waitcnt lgkmcnt(0)
	s_mul_i32 s0, s0, s33
	s_add_i32 s0, s0, s6
	s_lshl_b64 s[0:1], s[0:1], 2
	s_add_u32 s0, s18, s0
	s_addc_u32 s1, s19, s1
	s_load_dword s30, s[0:1], 0x0
.LBB0_12:
	v_lshlrev_b32_e32 v32, 2, v0
	v_mbcnt_lo_u32_b32 v35, -1, 0
	s_lshl_b32 s8, s28, 7
	s_waitcnt lgkmcnt(0)
	s_cmp_lt_i32 s8, s30
	s_cbranch_scc1 .LBB0_15
; %bb.13:
	v_mbcnt_lo_u32_b32 v7, -1, 0
	v_mov_b32_e32 v6, 32
	v_xor_b32_e32 v9, 16, v7
	v_xor_b32_e32 v10, 8, v7
	;; [unrolled: 1-line block ×5, first 2 shown]
	s_mov_b32 s1, 0
	s_cbranch_execz .LBB0_16
; %bb.14:
	v_mov_b32_e32 v72, 0
	v_mov_b32_e32 v16, 0
	;; [unrolled: 1-line block ×40, first 2 shown]
	s_branch .LBB0_24
.LBB0_15:
                                        ; implicit-def: $vgpr7
                                        ; implicit-def: $vgpr6
                                        ; implicit-def: $vgpr9
                                        ; implicit-def: $vgpr10
                                        ; implicit-def: $vgpr11
                                        ; implicit-def: $vgpr12
                                        ; implicit-def: $vgpr13
	s_mov_b32 s1, 0
.LBB0_16:
	s_clause 0x1
	s_load_dwordx4 s[24:27], s[4:5], 0x98
	s_load_dwordx2 s[14:15], s[4:5], 0x8c
	s_sub_i32 s0, 0, s7
	s_abs_i32 s6, s29
	s_mul_i32 s0, s0, s38
	s_ashr_i32 s36, s29, 31
	s_mul_hi_u32 s0, s38, s0
	s_ashr_i32 s31, s31, 31
	s_add_i32 s38, s38, s0
	s_ashr_i32 s0, s37, 1
	s_mul_hi_u32 s37, s6, s38
	s_ashr_i32 s38, s33, 31
	s_load_dwordx2 s[18:19], s[4:5], 0xa8
	s_mul_i32 s39, s37, s7
	v_lshrrev_b32_e32 v2, 3, v0
	v_and_b32_e32 v15, 28, v32
	v_lshlrev_b32_e32 v12, 10, v1
	v_mov_b32_e32 v48, 0
	v_mov_b32_e32 v88, 0xfeffffff
	v_add_nc_u32_e32 v3, v2, v5
	s_waitcnt lgkmcnt(0)
	s_ashr_i32 s9, s26, 2
	s_mul_hi_u32 s26, s24, s33
	s_mul_i32 s40, s24, s38
	s_mul_i32 s25, s25, s33
	s_add_i32 s26, s26, s40
	s_mul_i32 s24, s24, s33
	s_ashr_i32 s14, s14, 2
	s_add_i32 s26, s26, s25
	s_add_u32 s10, s10, s24
	s_addc_u32 s11, s11, s26
	s_sub_i32 s6, s6, s39
	s_xor_b32 s24, s36, s31
	s_add_i32 s25, s37, 1
	s_sub_i32 s26, s6, s7
	s_cmp_ge_u32 s6, s7
	s_mul_i32 s19, s19, s33
	s_cselect_b32 s25, s25, s37
	s_cselect_b32 s6, s26, s6
	s_add_i32 s26, s25, 1
	s_cmp_ge_u32 s6, s7
	s_mul_hi_u32 s7, s18, s33
	s_cselect_b32 s6, s26, s25
	v_mul_lo_u32 v2, s14, v3
	s_xor_b32 s6, s6, s24
	v_lshlrev_b32_e32 v5, 2, v15
	s_sub_i32 s6, s6, s24
	s_mul_i32 s24, s18, s38
	s_mul_i32 s15, s6, s15
	;; [unrolled: 1-line block ×3, first 2 shown]
	s_ashr_i32 s25, s15, 31
	s_add_u32 s10, s10, s15
	s_addc_u32 s11, s11, s25
	s_add_i32 s7, s7, s24
	s_mul_i32 s15, s18, s33
	s_add_i32 s7, s7, s19
	s_add_u32 s12, s12, s15
	s_addc_u32 s7, s13, s7
	s_ashr_i32 s13, s6, 31
	s_add_u32 s12, s12, s6
	s_addc_u32 s13, s7, s13
	s_lshl_b32 s6, s14, 5
	v_mad_u32_u24 v10, 0x90, v3, v5
	v_add_nc_u32_e32 v5, s6, v2
	v_mul_lo_u32 v11, s9, v1
	v_lshl_add_u32 v1, v32, 2, v12
	v_ashrrev_i32_e32 v3, 31, v2
	v_add_nc_u32_e32 v36, 0x9000, v10
	v_add_nc_u32_e32 v7, s6, v5
	;; [unrolled: 1-line block ×3, first 2 shown]
	v_ashrrev_i32_e32 v6, 31, v5
	v_add_nc_u32_e32 v38, 0xb400, v10
	v_lshl_add_u32 v13, s9, 3, v11
	v_add_nc_u32_e32 v9, s6, v7
	v_ashrrev_i32_e32 v8, 31, v7
	v_add_nc_u32_e32 v39, 0xc600, v10
	v_add_nc_u32_e32 v41, 0xd800, v12
	v_ashrrev_i32_e32 v12, 31, v11
	v_ashrrev_i32_e32 v10, 31, v9
	;; [unrolled: 1-line block ×3, first 2 shown]
	v_mad_u64_u32 v[18:19], null, v4, s0, v[0:1]
	s_mov_b32 s7, 0x9000
	v_lshlrev_b64 v[19:20], 2, v[2:3]
	v_lshlrev_b64 v[21:22], 2, v[5:6]
	v_lshlrev_b64 v[23:24], 2, v[7:8]
	v_lshlrev_b64 v[25:26], 2, v[9:10]
	v_lshlrev_b64 v[27:28], 2, v[11:12]
	v_lshlrev_b64 v[29:30], 2, v[13:14]
	v_mad_u32_u24 v40, 0x90, v0, s7
	v_add_nc_u32_e32 v42, 0x9000, v1
	v_add_nc_u32_e32 v43, 0x9200, v1
	;; [unrolled: 1-line block ×4, first 2 shown]
	v_lshlrev_b32_e32 v46, 2, v15
	v_mov_b32_e32 v47, 0x10001
	v_mov_b32_e32 v49, 0
	;; [unrolled: 1-line block ×39, first 2 shown]
	s_add_u32 s6, s4, 0xd0
	s_addc_u32 s7, s5, 0
.LBB0_17:                               ; =>This Loop Header: Depth=1
                                        ;     Child Loop BB0_19 Depth 2
	s_mul_hi_i32 s19, s8, s14
	s_mul_i32 s18, s8, s14
	v_mov_b32_e32 v95, 0
	s_lshl_b64 s[18:19], s[18:19], 2
	v_mov_b32_e32 v92, 0
	v_mov_b32_e32 v81, 0
	;; [unrolled: 1-line block ×15, first 2 shown]
	s_add_u32 s15, s10, s18
	s_addc_u32 s18, s11, s19
	s_mov_b32 s19, 0
	s_branch .LBB0_19
.LBB0_18:                               ;   in Loop: Header=BB0_19 Depth=2
	s_andn2_b32 vcc_lo, exec_lo, s0
	s_cbranch_vccz .LBB0_21
.LBB0_19:                               ;   Parent Loop BB0_17 Depth=1
                                        ; =>  This Inner Loop Header: Depth=2
	s_lshr_b32 s0, s19, 1
	v_lshl_add_u32 v87, s19, 1, v34
	s_lshl_b64 s[24:25], s[0:1], 2
	s_add_u32 s0, s15, s24
	s_addc_u32 s24, s18, s25
	v_add_co_u32 v1, vcc_lo, s0, v19
	v_add_co_ci_u32_e64 v2, null, s24, v20, vcc_lo
	v_add_co_u32 v3, vcc_lo, s0, v21
	v_add_co_ci_u32_e64 v4, null, s24, v22, vcc_lo
	;; [unrolled: 2-line block ×8, first 2 shown]
	s_clause 0x3
	global_load_dwordx4 v[1:4], v[1:2], off
	global_load_dwordx4 v[5:8], v[5:6], off
	;; [unrolled: 1-line block ×4, first 2 shown]
	s_add_i32 s24, s19, 64
	s_waitcnt vmcnt(3)
	ds_write_b128 v36, v[1:4]
	s_waitcnt vmcnt(2)
	ds_write_b128 v37, v[5:8]
	;; [unrolled: 2-line block ×4, first 2 shown]
	s_waitcnt lgkmcnt(0)
	s_barrier
	buffer_gl0_inv
	ds_read_b128 v[1:4], v40
	ds_read_b128 v[5:8], v87
	ds_read_b128 v[9:12], v87 offset:1152
	ds_read_b128 v[13:16], v87 offset:2304
	;; [unrolled: 1-line block ×6, first 2 shown]
	s_waitcnt lgkmcnt(6)
	;;#ASMSTART
	v_dot2_f32_f16 v95, v1, v5, v95
	;;#ASMEND
	;;#ASMSTART
	v_dot2_f32_f16 v95, v2, v6, v95
	;;#ASMEND
	;;#ASMSTART
	v_dot2_f32_f16 v95, v3, v7, v95
	;;#ASMEND
	;;#ASMSTART
	v_dot2_f32_f16 v95, v4, v8, v95
	;;#ASMEND
	s_waitcnt lgkmcnt(5)
	;;#ASMSTART
	v_dot2_f32_f16 v92, v1, v9, v92
	;;#ASMEND
	;;#ASMSTART
	v_dot2_f32_f16 v92, v2, v10, v92
	;;#ASMEND
	;;#ASMSTART
	v_dot2_f32_f16 v92, v3, v11, v92
	;;#ASMEND
	;;#ASMSTART
	v_dot2_f32_f16 v92, v4, v12, v92
	;;#ASMEND
	;; [unrolled: 13-line block ×5, first 2 shown]
	;;#ASMSTART
	v_dot2_f32_f16 v96, v109, v9, v96
	;;#ASMEND
	;;#ASMSTART
	v_dot2_f32_f16 v96, v110, v10, v96
	;;#ASMEND
	;;#ASMSTART
	v_dot2_f32_f16 v96, v111, v11, v96
	;;#ASMEND
	;;#ASMSTART
	v_dot2_f32_f16 v96, v112, v12, v96
	;;#ASMEND
	;;#ASMSTART
	v_dot2_f32_f16 v93, v109, v13, v93
	;;#ASMEND
	;;#ASMSTART
	v_dot2_f32_f16 v93, v110, v14, v93
	;;#ASMEND
	;;#ASMSTART
	v_dot2_f32_f16 v93, v111, v15, v93
	;;#ASMEND
	;;#ASMSTART
	v_dot2_f32_f16 v93, v112, v16, v93
	;;#ASMEND
	;;#ASMSTART
	v_dot2_f32_f16 v82, v109, v105, v82
	;;#ASMEND
	;;#ASMSTART
	v_dot2_f32_f16 v82, v110, v106, v82
	;;#ASMEND
	;;#ASMSTART
	v_dot2_f32_f16 v82, v111, v107, v82
	;;#ASMEND
	;;#ASMSTART
	v_dot2_f32_f16 v82, v112, v108, v82
	;;#ASMEND
	s_waitcnt lgkmcnt(1)
	;;#ASMSTART
	v_dot2_f32_f16 v102, v113, v5, v102
	;;#ASMEND
	;;#ASMSTART
	v_dot2_f32_f16 v102, v114, v6, v102
	;;#ASMEND
	;; [unrolled: 3-line block ×16, first 2 shown]
	s_waitcnt lgkmcnt(0)
	;;#ASMSTART
	v_dot2_f32_f16 v104, v117, v5, v104
	;;#ASMEND
	;;#ASMSTART
	v_dot2_f32_f16 v104, v118, v6, v104
	;;#ASMEND
	;; [unrolled: 3-line block ×16, first 2 shown]
	ds_read_b128 v[1:4], v40 offset:16
	ds_read_b128 v[5:8], v87 offset:16
	;; [unrolled: 1-line block ×8, first 2 shown]
	s_waitcnt lgkmcnt(6)
	;;#ASMSTART
	v_dot2_f32_f16 v95, v1, v5, v95
	;;#ASMEND
	;;#ASMSTART
	v_dot2_f32_f16 v95, v2, v6, v95
	;;#ASMEND
	;;#ASMSTART
	v_dot2_f32_f16 v95, v3, v7, v95
	;;#ASMEND
	;;#ASMSTART
	v_dot2_f32_f16 v95, v4, v8, v95
	;;#ASMEND
	s_waitcnt lgkmcnt(5)
	;;#ASMSTART
	v_dot2_f32_f16 v92, v1, v9, v92
	;;#ASMEND
	;;#ASMSTART
	v_dot2_f32_f16 v92, v2, v10, v92
	;;#ASMEND
	;;#ASMSTART
	v_dot2_f32_f16 v92, v3, v11, v92
	;;#ASMEND
	;;#ASMSTART
	v_dot2_f32_f16 v92, v4, v12, v92
	;;#ASMEND
	;; [unrolled: 13-line block ×5, first 2 shown]
	;;#ASMSTART
	v_dot2_f32_f16 v96, v109, v9, v96
	;;#ASMEND
	;;#ASMSTART
	v_dot2_f32_f16 v96, v110, v10, v96
	;;#ASMEND
	;; [unrolled: 3-line block ×12, first 2 shown]
	s_waitcnt lgkmcnt(1)
	;;#ASMSTART
	v_dot2_f32_f16 v102, v113, v5, v102
	;;#ASMEND
	;;#ASMSTART
	v_dot2_f32_f16 v102, v114, v6, v102
	;;#ASMEND
	;; [unrolled: 3-line block ×16, first 2 shown]
	s_waitcnt lgkmcnt(0)
	;;#ASMSTART
	v_dot2_f32_f16 v104, v117, v5, v104
	;;#ASMEND
	;;#ASMSTART
	v_dot2_f32_f16 v104, v118, v6, v104
	;;#ASMEND
	;; [unrolled: 3-line block ×16, first 2 shown]
	ds_read_b128 v[1:4], v40 offset:32
	ds_read_b128 v[5:8], v87 offset:32
	;; [unrolled: 1-line block ×8, first 2 shown]
	s_waitcnt lgkmcnt(6)
	;;#ASMSTART
	v_dot2_f32_f16 v95, v1, v5, v95
	;;#ASMEND
	;;#ASMSTART
	v_dot2_f32_f16 v95, v2, v6, v95
	;;#ASMEND
	;;#ASMSTART
	v_dot2_f32_f16 v95, v3, v7, v95
	;;#ASMEND
	;;#ASMSTART
	v_dot2_f32_f16 v95, v4, v8, v95
	;;#ASMEND
	s_waitcnt lgkmcnt(5)
	;;#ASMSTART
	v_dot2_f32_f16 v92, v1, v9, v92
	;;#ASMEND
	;;#ASMSTART
	v_dot2_f32_f16 v92, v2, v10, v92
	;;#ASMEND
	;;#ASMSTART
	v_dot2_f32_f16 v92, v3, v11, v92
	;;#ASMEND
	;;#ASMSTART
	v_dot2_f32_f16 v92, v4, v12, v92
	;;#ASMEND
	;; [unrolled: 13-line block ×5, first 2 shown]
	;;#ASMSTART
	v_dot2_f32_f16 v96, v109, v9, v96
	;;#ASMEND
	;;#ASMSTART
	v_dot2_f32_f16 v96, v110, v10, v96
	;;#ASMEND
	;; [unrolled: 3-line block ×12, first 2 shown]
	s_waitcnt lgkmcnt(1)
	;;#ASMSTART
	v_dot2_f32_f16 v102, v113, v5, v102
	;;#ASMEND
	;;#ASMSTART
	v_dot2_f32_f16 v102, v114, v6, v102
	;;#ASMEND
	;; [unrolled: 3-line block ×16, first 2 shown]
	s_waitcnt lgkmcnt(0)
	;;#ASMSTART
	v_dot2_f32_f16 v104, v117, v5, v104
	;;#ASMEND
	;;#ASMSTART
	v_dot2_f32_f16 v104, v118, v6, v104
	;;#ASMEND
	;; [unrolled: 3-line block ×16, first 2 shown]
	ds_read_b128 v[1:4], v40 offset:48
	ds_read_b128 v[5:8], v87 offset:48
	;; [unrolled: 1-line block ×8, first 2 shown]
	s_waitcnt lgkmcnt(6)
	;;#ASMSTART
	v_dot2_f32_f16 v95, v1, v5, v95
	;;#ASMEND
	;;#ASMSTART
	v_dot2_f32_f16 v95, v2, v6, v95
	;;#ASMEND
	;;#ASMSTART
	v_dot2_f32_f16 v95, v3, v7, v95
	;;#ASMEND
	;;#ASMSTART
	v_dot2_f32_f16 v95, v4, v8, v95
	;;#ASMEND
	s_waitcnt lgkmcnt(5)
	;;#ASMSTART
	v_dot2_f32_f16 v92, v1, v9, v92
	;;#ASMEND
	;;#ASMSTART
	v_dot2_f32_f16 v92, v2, v10, v92
	;;#ASMEND
	;;#ASMSTART
	v_dot2_f32_f16 v92, v3, v11, v92
	;;#ASMEND
	;;#ASMSTART
	v_dot2_f32_f16 v92, v4, v12, v92
	;;#ASMEND
	;; [unrolled: 13-line block ×5, first 2 shown]
	;;#ASMSTART
	v_dot2_f32_f16 v96, v109, v9, v96
	;;#ASMEND
	;;#ASMSTART
	v_dot2_f32_f16 v96, v110, v10, v96
	;;#ASMEND
	;; [unrolled: 3-line block ×12, first 2 shown]
	s_waitcnt lgkmcnt(1)
	;;#ASMSTART
	v_dot2_f32_f16 v102, v113, v5, v102
	;;#ASMEND
	;;#ASMSTART
	v_dot2_f32_f16 v102, v114, v6, v102
	;;#ASMEND
	;; [unrolled: 3-line block ×16, first 2 shown]
	s_waitcnt lgkmcnt(0)
	;;#ASMSTART
	v_dot2_f32_f16 v104, v117, v5, v104
	;;#ASMEND
	;;#ASMSTART
	v_dot2_f32_f16 v104, v118, v6, v104
	;;#ASMEND
	;; [unrolled: 3-line block ×16, first 2 shown]
	ds_read_b128 v[1:4], v40 offset:64
	ds_read_b128 v[5:8], v87 offset:64
	;; [unrolled: 1-line block ×8, first 2 shown]
	s_waitcnt lgkmcnt(6)
	;;#ASMSTART
	v_dot2_f32_f16 v95, v1, v5, v95
	;;#ASMEND
	;;#ASMSTART
	v_dot2_f32_f16 v95, v2, v6, v95
	;;#ASMEND
	;;#ASMSTART
	v_dot2_f32_f16 v95, v3, v7, v95
	;;#ASMEND
	;;#ASMSTART
	v_dot2_f32_f16 v95, v4, v8, v95
	;;#ASMEND
	s_waitcnt lgkmcnt(5)
	;;#ASMSTART
	v_dot2_f32_f16 v92, v1, v9, v92
	;;#ASMEND
	;;#ASMSTART
	v_dot2_f32_f16 v92, v2, v10, v92
	;;#ASMEND
	;;#ASMSTART
	v_dot2_f32_f16 v92, v3, v11, v92
	;;#ASMEND
	;;#ASMSTART
	v_dot2_f32_f16 v92, v4, v12, v92
	;;#ASMEND
	;; [unrolled: 13-line block ×5, first 2 shown]
	;;#ASMSTART
	v_dot2_f32_f16 v96, v109, v9, v96
	;;#ASMEND
	;;#ASMSTART
	v_dot2_f32_f16 v96, v110, v10, v96
	;;#ASMEND
	;; [unrolled: 3-line block ×12, first 2 shown]
	s_waitcnt lgkmcnt(1)
	;;#ASMSTART
	v_dot2_f32_f16 v102, v113, v5, v102
	;;#ASMEND
	;;#ASMSTART
	v_dot2_f32_f16 v102, v114, v6, v102
	;;#ASMEND
	;; [unrolled: 3-line block ×16, first 2 shown]
	s_waitcnt lgkmcnt(0)
	;;#ASMSTART
	v_dot2_f32_f16 v104, v117, v5, v104
	;;#ASMEND
	;;#ASMSTART
	v_dot2_f32_f16 v104, v118, v6, v104
	;;#ASMEND
	;; [unrolled: 3-line block ×16, first 2 shown]
	ds_read_b128 v[13:16], v40 offset:80
	ds_read_b128 v[1:4], v87 offset:80
	;; [unrolled: 1-line block ×8, first 2 shown]
	s_waitcnt lgkmcnt(6)
	;;#ASMSTART
	v_dot2_f32_f16 v95, v13, v1, v95
	;;#ASMEND
	;;#ASMSTART
	v_dot2_f32_f16 v95, v14, v2, v95
	;;#ASMEND
	;;#ASMSTART
	v_dot2_f32_f16 v95, v15, v3, v95
	;;#ASMEND
	;;#ASMSTART
	v_dot2_f32_f16 v95, v16, v4, v95
	;;#ASMEND
	s_waitcnt lgkmcnt(5)
	;;#ASMSTART
	v_dot2_f32_f16 v92, v13, v5, v92
	;;#ASMEND
	;;#ASMSTART
	v_dot2_f32_f16 v92, v14, v6, v92
	;;#ASMEND
	;;#ASMSTART
	v_dot2_f32_f16 v92, v15, v7, v92
	;;#ASMEND
	;;#ASMSTART
	v_dot2_f32_f16 v92, v16, v8, v92
	;;#ASMEND
	;; [unrolled: 13-line block ×5, first 2 shown]
	;;#ASMSTART
	v_dot2_f32_f16 v96, v109, v5, v96
	;;#ASMEND
	;;#ASMSTART
	v_dot2_f32_f16 v96, v110, v6, v96
	;;#ASMEND
	;; [unrolled: 3-line block ×12, first 2 shown]
	s_waitcnt lgkmcnt(1)
	;;#ASMSTART
	v_dot2_f32_f16 v102, v113, v1, v102
	;;#ASMEND
	;;#ASMSTART
	v_dot2_f32_f16 v102, v114, v2, v102
	;;#ASMEND
	;; [unrolled: 3-line block ×16, first 2 shown]
	s_waitcnt lgkmcnt(0)
	;;#ASMSTART
	v_dot2_f32_f16 v104, v117, v1, v104
	;;#ASMEND
	;;#ASMSTART
	v_dot2_f32_f16 v104, v118, v2, v104
	;;#ASMEND
	;; [unrolled: 3-line block ×16, first 2 shown]
	ds_read_b128 v[1:4], v40 offset:96
	ds_read_b128 v[5:8], v87 offset:96
	;; [unrolled: 1-line block ×8, first 2 shown]
	s_waitcnt lgkmcnt(6)
	;;#ASMSTART
	v_dot2_f32_f16 v95, v1, v5, v95
	;;#ASMEND
	;;#ASMSTART
	v_dot2_f32_f16 v95, v2, v6, v95
	;;#ASMEND
	;;#ASMSTART
	v_dot2_f32_f16 v95, v3, v7, v95
	;;#ASMEND
	;;#ASMSTART
	v_dot2_f32_f16 v95, v4, v8, v95
	;;#ASMEND
	s_waitcnt lgkmcnt(5)
	;;#ASMSTART
	v_dot2_f32_f16 v92, v1, v9, v92
	;;#ASMEND
	;;#ASMSTART
	v_dot2_f32_f16 v92, v2, v10, v92
	;;#ASMEND
	;;#ASMSTART
	v_dot2_f32_f16 v92, v3, v11, v92
	;;#ASMEND
	;;#ASMSTART
	v_dot2_f32_f16 v92, v4, v12, v92
	;;#ASMEND
	;; [unrolled: 13-line block ×5, first 2 shown]
	;;#ASMSTART
	v_dot2_f32_f16 v96, v109, v9, v96
	;;#ASMEND
	;;#ASMSTART
	v_dot2_f32_f16 v96, v110, v10, v96
	;;#ASMEND
	;; [unrolled: 3-line block ×12, first 2 shown]
	s_waitcnt lgkmcnt(1)
	;;#ASMSTART
	v_dot2_f32_f16 v102, v113, v5, v102
	;;#ASMEND
	;;#ASMSTART
	v_dot2_f32_f16 v102, v114, v6, v102
	;;#ASMEND
	;; [unrolled: 3-line block ×16, first 2 shown]
	s_waitcnt lgkmcnt(0)
	;;#ASMSTART
	v_dot2_f32_f16 v104, v117, v5, v104
	;;#ASMEND
	;;#ASMSTART
	v_dot2_f32_f16 v104, v118, v6, v104
	;;#ASMEND
	;; [unrolled: 3-line block ×16, first 2 shown]
	ds_read_b128 v[1:4], v40 offset:112
	ds_read_b128 v[5:8], v87 offset:112
	;; [unrolled: 1-line block ×8, first 2 shown]
	s_waitcnt lgkmcnt(6)
	;;#ASMSTART
	v_dot2_f32_f16 v95, v1, v5, v95
	;;#ASMEND
	;;#ASMSTART
	v_dot2_f32_f16 v95, v2, v6, v95
	;;#ASMEND
	;;#ASMSTART
	v_dot2_f32_f16 v95, v3, v7, v95
	;;#ASMEND
	;;#ASMSTART
	v_dot2_f32_f16 v95, v4, v8, v95
	;;#ASMEND
	s_waitcnt lgkmcnt(5)
	;;#ASMSTART
	v_dot2_f32_f16 v92, v1, v9, v92
	;;#ASMEND
	;;#ASMSTART
	v_dot2_f32_f16 v92, v2, v10, v92
	;;#ASMEND
	;;#ASMSTART
	v_dot2_f32_f16 v92, v3, v11, v92
	;;#ASMEND
	;;#ASMSTART
	v_dot2_f32_f16 v92, v4, v12, v92
	;;#ASMEND
	;; [unrolled: 13-line block ×5, first 2 shown]
	;;#ASMSTART
	v_dot2_f32_f16 v96, v109, v9, v96
	;;#ASMEND
	;;#ASMSTART
	v_dot2_f32_f16 v96, v110, v10, v96
	;;#ASMEND
	;; [unrolled: 3-line block ×11, first 2 shown]
	s_lshr_b32 s0, s24, 1
	;;#ASMSTART
	v_dot2_f32_f16 v82, v112, v108, v82
	;;#ASMEND
	s_waitcnt lgkmcnt(1)
	;;#ASMSTART
	v_dot2_f32_f16 v102, v113, v5, v102
	;;#ASMEND
	;;#ASMSTART
	v_dot2_f32_f16 v102, v114, v6, v102
	;;#ASMEND
	s_lshl_b64 s[26:27], s[0:1], 2
	;;#ASMSTART
	v_dot2_f32_f16 v102, v115, v7, v102
	;;#ASMEND
	;;#ASMSTART
	v_dot2_f32_f16 v102, v116, v8, v102
	;;#ASMEND
	;; [unrolled: 3-line block ×3, first 2 shown]
	s_add_u32 s0, s15, s26
	;;#ASMSTART
	v_dot2_f32_f16 v100, v114, v10, v100
	;;#ASMEND
	;;#ASMSTART
	v_dot2_f32_f16 v100, v115, v11, v100
	;;#ASMEND
	s_addc_u32 s25, s18, s27
	v_add_co_u32 v121, vcc_lo, s0, v19
	;;#ASMSTART
	v_dot2_f32_f16 v100, v116, v12, v100
	;;#ASMEND
	;;#ASMSTART
	v_dot2_f32_f16 v97, v113, v13, v97
	;;#ASMEND
	;; [unrolled: 3-line block ×3, first 2 shown]
	v_add_co_ci_u32_e64 v122, null, s25, v20, vcc_lo
	v_add_co_u32 v123, vcc_lo, s0, v21
	;;#ASMSTART
	v_dot2_f32_f16 v97, v115, v15, v97
	;;#ASMEND
	;;#ASMSTART
	v_dot2_f32_f16 v97, v116, v16, v97
	;;#ASMEND
	;; [unrolled: 3-line block ×3, first 2 shown]
	v_add_co_ci_u32_e64 v124, null, s25, v22, vcc_lo
	v_add_co_u32 v125, vcc_lo, s0, v23
	;;#ASMSTART
	v_dot2_f32_f16 v94, v114, v106, v94
	;;#ASMEND
	;;#ASMSTART
	v_dot2_f32_f16 v94, v115, v107, v94
	;;#ASMEND
	v_add_co_ci_u32_e64 v126, null, s25, v24, vcc_lo
	v_add_co_u32 v127, vcc_lo, s0, v25
	;;#ASMSTART
	v_dot2_f32_f16 v94, v116, v108, v94
	;;#ASMEND
	s_waitcnt lgkmcnt(0)
	;;#ASMSTART
	v_dot2_f32_f16 v104, v117, v5, v104
	;;#ASMEND
	;;#ASMSTART
	v_dot2_f32_f16 v104, v118, v6, v104
	;;#ASMEND
	v_add_co_ci_u32_e64 v128, null, s25, v26, vcc_lo
	v_add_co_u32 v121, vcc_lo, v121, v46
	;;#ASMSTART
	v_dot2_f32_f16 v104, v119, v7, v104
	;;#ASMEND
	;;#ASMSTART
	v_dot2_f32_f16 v104, v120, v8, v104
	;;#ASMEND
	;; [unrolled: 3-line block ×3, first 2 shown]
	v_add_co_ci_u32_e64 v122, null, 0, v122, vcc_lo
	v_add_co_u32 v123, vcc_lo, v123, v46
	;;#ASMSTART
	v_dot2_f32_f16 v103, v118, v10, v103
	;;#ASMEND
	;;#ASMSTART
	v_dot2_f32_f16 v103, v119, v11, v103
	;;#ASMEND
	v_add_co_ci_u32_e64 v124, null, 0, v124, vcc_lo
	v_add_co_u32 v125, vcc_lo, v125, v46
	;;#ASMSTART
	v_dot2_f32_f16 v103, v120, v12, v103
	;;#ASMEND
	;;#ASMSTART
	v_dot2_f32_f16 v101, v117, v13, v101
	;;#ASMEND
	;;#ASMSTART
	v_dot2_f32_f16 v101, v118, v14, v101
	;;#ASMEND
	v_add_co_ci_u32_e64 v126, null, 0, v126, vcc_lo
	v_add_co_u32 v127, vcc_lo, v127, v46
	;;#ASMSTART
	v_dot2_f32_f16 v101, v119, v15, v101
	;;#ASMEND
	;;#ASMSTART
	v_dot2_f32_f16 v101, v120, v16, v101
	;;#ASMEND
	;; [unrolled: 3-line block ×3, first 2 shown]
	v_add_co_ci_u32_e64 v128, null, 0, v128, vcc_lo
	;;#ASMSTART
	v_dot2_f32_f16 v98, v118, v106, v98
	;;#ASMEND
	;;#ASMSTART
	v_dot2_f32_f16 v98, v119, v107, v98
	;;#ASMEND
	;; [unrolled: 3-line block ×3, first 2 shown]
	s_barrier
	buffer_gl0_inv
	s_clause 0x3
	global_load_dwordx4 v[1:4], v[121:122], off
	global_load_dwordx4 v[5:8], v[123:124], off
	global_load_dwordx4 v[9:12], v[125:126], off
	global_load_dwordx4 v[13:16], v[127:128], off
	v_lshl_add_u32 v87, s24, 1, v34
	s_add_i32 s24, s19, 0x80
	s_waitcnt vmcnt(3)
	ds_write_b128 v36, v[1:4]
	s_waitcnt vmcnt(2)
	ds_write_b128 v37, v[5:8]
	s_waitcnt vmcnt(1)
	ds_write_b128 v38, v[9:12]
	s_waitcnt vmcnt(0)
	ds_write_b128 v39, v[13:16]
	s_waitcnt lgkmcnt(0)
	s_barrier
	buffer_gl0_inv
	ds_read_b128 v[1:4], v40
	ds_read_b128 v[5:8], v87
	ds_read_b128 v[9:12], v87 offset:1152
	ds_read_b128 v[13:16], v87 offset:2304
	;; [unrolled: 1-line block ×6, first 2 shown]
	s_waitcnt lgkmcnt(6)
	;;#ASMSTART
	v_dot2_f32_f16 v95, v1, v5, v95
	;;#ASMEND
	;;#ASMSTART
	v_dot2_f32_f16 v95, v2, v6, v95
	;;#ASMEND
	;;#ASMSTART
	v_dot2_f32_f16 v95, v3, v7, v95
	;;#ASMEND
	;;#ASMSTART
	v_dot2_f32_f16 v95, v4, v8, v95
	;;#ASMEND
	s_waitcnt lgkmcnt(5)
	;;#ASMSTART
	v_dot2_f32_f16 v92, v1, v9, v92
	;;#ASMEND
	;;#ASMSTART
	v_dot2_f32_f16 v92, v2, v10, v92
	;;#ASMEND
	;;#ASMSTART
	v_dot2_f32_f16 v92, v3, v11, v92
	;;#ASMEND
	;;#ASMSTART
	v_dot2_f32_f16 v92, v4, v12, v92
	;;#ASMEND
	;; [unrolled: 13-line block ×5, first 2 shown]
	;;#ASMSTART
	v_dot2_f32_f16 v96, v109, v9, v96
	;;#ASMEND
	;;#ASMSTART
	v_dot2_f32_f16 v96, v110, v10, v96
	;;#ASMEND
	;; [unrolled: 3-line block ×12, first 2 shown]
	s_waitcnt lgkmcnt(1)
	;;#ASMSTART
	v_dot2_f32_f16 v102, v113, v5, v102
	;;#ASMEND
	;;#ASMSTART
	v_dot2_f32_f16 v102, v114, v6, v102
	;;#ASMEND
	;;#ASMSTART
	v_dot2_f32_f16 v102, v115, v7, v102
	;;#ASMEND
	;;#ASMSTART
	v_dot2_f32_f16 v102, v116, v8, v102
	;;#ASMEND
	;;#ASMSTART
	v_dot2_f32_f16 v100, v113, v9, v100
	;;#ASMEND
	;;#ASMSTART
	v_dot2_f32_f16 v100, v114, v10, v100
	;;#ASMEND
	;;#ASMSTART
	v_dot2_f32_f16 v100, v115, v11, v100
	;;#ASMEND
	;;#ASMSTART
	v_dot2_f32_f16 v100, v116, v12, v100
	;;#ASMEND
	;;#ASMSTART
	v_dot2_f32_f16 v97, v113, v13, v97
	;;#ASMEND
	;;#ASMSTART
	v_dot2_f32_f16 v97, v114, v14, v97
	;;#ASMEND
	;;#ASMSTART
	v_dot2_f32_f16 v97, v115, v15, v97
	;;#ASMEND
	;;#ASMSTART
	v_dot2_f32_f16 v97, v116, v16, v97
	;;#ASMEND
	;;#ASMSTART
	v_dot2_f32_f16 v94, v113, v105, v94
	;;#ASMEND
	;;#ASMSTART
	v_dot2_f32_f16 v94, v114, v106, v94
	;;#ASMEND
	;;#ASMSTART
	v_dot2_f32_f16 v94, v115, v107, v94
	;;#ASMEND
	;;#ASMSTART
	v_dot2_f32_f16 v94, v116, v108, v94
	;;#ASMEND
	s_waitcnt lgkmcnt(0)
	;;#ASMSTART
	v_dot2_f32_f16 v104, v117, v5, v104
	;;#ASMEND
	;;#ASMSTART
	v_dot2_f32_f16 v104, v118, v6, v104
	;;#ASMEND
	;; [unrolled: 3-line block ×16, first 2 shown]
	ds_read_b128 v[1:4], v40 offset:16
	ds_read_b128 v[5:8], v87 offset:16
	;; [unrolled: 1-line block ×8, first 2 shown]
	s_waitcnt lgkmcnt(6)
	;;#ASMSTART
	v_dot2_f32_f16 v95, v1, v5, v95
	;;#ASMEND
	;;#ASMSTART
	v_dot2_f32_f16 v95, v2, v6, v95
	;;#ASMEND
	;;#ASMSTART
	v_dot2_f32_f16 v95, v3, v7, v95
	;;#ASMEND
	;;#ASMSTART
	v_dot2_f32_f16 v95, v4, v8, v95
	;;#ASMEND
	s_waitcnt lgkmcnt(5)
	;;#ASMSTART
	v_dot2_f32_f16 v92, v1, v9, v92
	;;#ASMEND
	;;#ASMSTART
	v_dot2_f32_f16 v92, v2, v10, v92
	;;#ASMEND
	;;#ASMSTART
	v_dot2_f32_f16 v92, v3, v11, v92
	;;#ASMEND
	;;#ASMSTART
	v_dot2_f32_f16 v92, v4, v12, v92
	;;#ASMEND
	;; [unrolled: 13-line block ×5, first 2 shown]
	;;#ASMSTART
	v_dot2_f32_f16 v96, v109, v9, v96
	;;#ASMEND
	;;#ASMSTART
	v_dot2_f32_f16 v96, v110, v10, v96
	;;#ASMEND
	;;#ASMSTART
	v_dot2_f32_f16 v96, v111, v11, v96
	;;#ASMEND
	;;#ASMSTART
	v_dot2_f32_f16 v96, v112, v12, v96
	;;#ASMEND
	;;#ASMSTART
	v_dot2_f32_f16 v93, v109, v13, v93
	;;#ASMEND
	;;#ASMSTART
	v_dot2_f32_f16 v93, v110, v14, v93
	;;#ASMEND
	;;#ASMSTART
	v_dot2_f32_f16 v93, v111, v15, v93
	;;#ASMEND
	;;#ASMSTART
	v_dot2_f32_f16 v93, v112, v16, v93
	;;#ASMEND
	;;#ASMSTART
	v_dot2_f32_f16 v82, v109, v105, v82
	;;#ASMEND
	;;#ASMSTART
	v_dot2_f32_f16 v82, v110, v106, v82
	;;#ASMEND
	;;#ASMSTART
	v_dot2_f32_f16 v82, v111, v107, v82
	;;#ASMEND
	;;#ASMSTART
	v_dot2_f32_f16 v82, v112, v108, v82
	;;#ASMEND
	s_waitcnt lgkmcnt(1)
	;;#ASMSTART
	v_dot2_f32_f16 v102, v113, v5, v102
	;;#ASMEND
	;;#ASMSTART
	v_dot2_f32_f16 v102, v114, v6, v102
	;;#ASMEND
	;; [unrolled: 3-line block ×16, first 2 shown]
	s_waitcnt lgkmcnt(0)
	;;#ASMSTART
	v_dot2_f32_f16 v104, v117, v5, v104
	;;#ASMEND
	;;#ASMSTART
	v_dot2_f32_f16 v104, v118, v6, v104
	;;#ASMEND
	;; [unrolled: 3-line block ×16, first 2 shown]
	ds_read_b128 v[1:4], v40 offset:32
	ds_read_b128 v[5:8], v87 offset:32
	;; [unrolled: 1-line block ×8, first 2 shown]
	s_waitcnt lgkmcnt(6)
	;;#ASMSTART
	v_dot2_f32_f16 v95, v1, v5, v95
	;;#ASMEND
	;;#ASMSTART
	v_dot2_f32_f16 v95, v2, v6, v95
	;;#ASMEND
	;;#ASMSTART
	v_dot2_f32_f16 v95, v3, v7, v95
	;;#ASMEND
	;;#ASMSTART
	v_dot2_f32_f16 v95, v4, v8, v95
	;;#ASMEND
	s_waitcnt lgkmcnt(5)
	;;#ASMSTART
	v_dot2_f32_f16 v92, v1, v9, v92
	;;#ASMEND
	;;#ASMSTART
	v_dot2_f32_f16 v92, v2, v10, v92
	;;#ASMEND
	;;#ASMSTART
	v_dot2_f32_f16 v92, v3, v11, v92
	;;#ASMEND
	;;#ASMSTART
	v_dot2_f32_f16 v92, v4, v12, v92
	;;#ASMEND
	s_waitcnt lgkmcnt(4)
	;;#ASMSTART
	v_dot2_f32_f16 v81, v1, v13, v81
	;;#ASMEND
	;;#ASMSTART
	v_dot2_f32_f16 v81, v2, v14, v81
	;;#ASMEND
	;;#ASMSTART
	v_dot2_f32_f16 v81, v3, v15, v81
	;;#ASMEND
	;;#ASMSTART
	v_dot2_f32_f16 v81, v4, v16, v81
	;;#ASMEND
	s_waitcnt lgkmcnt(3)
	;;#ASMSTART
	v_dot2_f32_f16 v73, v1, v105, v73
	;;#ASMEND
	;;#ASMSTART
	v_dot2_f32_f16 v73, v2, v106, v73
	;;#ASMEND
	;;#ASMSTART
	v_dot2_f32_f16 v73, v3, v107, v73
	;;#ASMEND
	;;#ASMSTART
	v_dot2_f32_f16 v73, v4, v108, v73
	;;#ASMEND
	s_waitcnt lgkmcnt(2)
	;;#ASMSTART
	v_dot2_f32_f16 v99, v109, v5, v99
	;;#ASMEND
	;;#ASMSTART
	v_dot2_f32_f16 v99, v110, v6, v99
	;;#ASMEND
	;;#ASMSTART
	v_dot2_f32_f16 v99, v111, v7, v99
	;;#ASMEND
	;;#ASMSTART
	v_dot2_f32_f16 v99, v112, v8, v99
	;;#ASMEND
	;;#ASMSTART
	v_dot2_f32_f16 v96, v109, v9, v96
	;;#ASMEND
	;;#ASMSTART
	v_dot2_f32_f16 v96, v110, v10, v96
	;;#ASMEND
	;; [unrolled: 3-line block ×12, first 2 shown]
	s_waitcnt lgkmcnt(1)
	;;#ASMSTART
	v_dot2_f32_f16 v102, v113, v5, v102
	;;#ASMEND
	;;#ASMSTART
	v_dot2_f32_f16 v102, v114, v6, v102
	;;#ASMEND
	;; [unrolled: 3-line block ×16, first 2 shown]
	s_waitcnt lgkmcnt(0)
	;;#ASMSTART
	v_dot2_f32_f16 v104, v117, v5, v104
	;;#ASMEND
	;;#ASMSTART
	v_dot2_f32_f16 v104, v118, v6, v104
	;;#ASMEND
	;; [unrolled: 3-line block ×16, first 2 shown]
	ds_read_b128 v[1:4], v40 offset:48
	ds_read_b128 v[5:8], v87 offset:48
	;; [unrolled: 1-line block ×8, first 2 shown]
	s_waitcnt lgkmcnt(6)
	;;#ASMSTART
	v_dot2_f32_f16 v95, v1, v5, v95
	;;#ASMEND
	;;#ASMSTART
	v_dot2_f32_f16 v95, v2, v6, v95
	;;#ASMEND
	;;#ASMSTART
	v_dot2_f32_f16 v95, v3, v7, v95
	;;#ASMEND
	;;#ASMSTART
	v_dot2_f32_f16 v95, v4, v8, v95
	;;#ASMEND
	s_waitcnt lgkmcnt(5)
	;;#ASMSTART
	v_dot2_f32_f16 v92, v1, v9, v92
	;;#ASMEND
	;;#ASMSTART
	v_dot2_f32_f16 v92, v2, v10, v92
	;;#ASMEND
	;;#ASMSTART
	v_dot2_f32_f16 v92, v3, v11, v92
	;;#ASMEND
	;;#ASMSTART
	v_dot2_f32_f16 v92, v4, v12, v92
	;;#ASMEND
	;; [unrolled: 13-line block ×5, first 2 shown]
	;;#ASMSTART
	v_dot2_f32_f16 v96, v109, v9, v96
	;;#ASMEND
	;;#ASMSTART
	v_dot2_f32_f16 v96, v110, v10, v96
	;;#ASMEND
	;; [unrolled: 3-line block ×12, first 2 shown]
	s_waitcnt lgkmcnt(1)
	;;#ASMSTART
	v_dot2_f32_f16 v102, v113, v5, v102
	;;#ASMEND
	;;#ASMSTART
	v_dot2_f32_f16 v102, v114, v6, v102
	;;#ASMEND
	;; [unrolled: 3-line block ×16, first 2 shown]
	s_waitcnt lgkmcnt(0)
	;;#ASMSTART
	v_dot2_f32_f16 v104, v117, v5, v104
	;;#ASMEND
	;;#ASMSTART
	v_dot2_f32_f16 v104, v118, v6, v104
	;;#ASMEND
	;; [unrolled: 3-line block ×16, first 2 shown]
	ds_read_b128 v[1:4], v40 offset:64
	ds_read_b128 v[5:8], v87 offset:64
	;; [unrolled: 1-line block ×8, first 2 shown]
	s_waitcnt lgkmcnt(6)
	;;#ASMSTART
	v_dot2_f32_f16 v95, v1, v5, v95
	;;#ASMEND
	;;#ASMSTART
	v_dot2_f32_f16 v95, v2, v6, v95
	;;#ASMEND
	;;#ASMSTART
	v_dot2_f32_f16 v95, v3, v7, v95
	;;#ASMEND
	;;#ASMSTART
	v_dot2_f32_f16 v95, v4, v8, v95
	;;#ASMEND
	s_waitcnt lgkmcnt(5)
	;;#ASMSTART
	v_dot2_f32_f16 v92, v1, v9, v92
	;;#ASMEND
	;;#ASMSTART
	v_dot2_f32_f16 v92, v2, v10, v92
	;;#ASMEND
	;;#ASMSTART
	v_dot2_f32_f16 v92, v3, v11, v92
	;;#ASMEND
	;;#ASMSTART
	v_dot2_f32_f16 v92, v4, v12, v92
	;;#ASMEND
	;; [unrolled: 13-line block ×5, first 2 shown]
	;;#ASMSTART
	v_dot2_f32_f16 v96, v109, v9, v96
	;;#ASMEND
	;;#ASMSTART
	v_dot2_f32_f16 v96, v110, v10, v96
	;;#ASMEND
	;; [unrolled: 3-line block ×12, first 2 shown]
	s_waitcnt lgkmcnt(1)
	;;#ASMSTART
	v_dot2_f32_f16 v102, v113, v5, v102
	;;#ASMEND
	;;#ASMSTART
	v_dot2_f32_f16 v102, v114, v6, v102
	;;#ASMEND
	;; [unrolled: 3-line block ×16, first 2 shown]
	s_waitcnt lgkmcnt(0)
	;;#ASMSTART
	v_dot2_f32_f16 v104, v117, v5, v104
	;;#ASMEND
	;;#ASMSTART
	v_dot2_f32_f16 v104, v118, v6, v104
	;;#ASMEND
	;; [unrolled: 3-line block ×16, first 2 shown]
	ds_read_b128 v[13:16], v40 offset:80
	ds_read_b128 v[1:4], v87 offset:80
	;; [unrolled: 1-line block ×8, first 2 shown]
	s_waitcnt lgkmcnt(6)
	;;#ASMSTART
	v_dot2_f32_f16 v95, v13, v1, v95
	;;#ASMEND
	;;#ASMSTART
	v_dot2_f32_f16 v95, v14, v2, v95
	;;#ASMEND
	;;#ASMSTART
	v_dot2_f32_f16 v95, v15, v3, v95
	;;#ASMEND
	;;#ASMSTART
	v_dot2_f32_f16 v95, v16, v4, v95
	;;#ASMEND
	s_waitcnt lgkmcnt(5)
	;;#ASMSTART
	v_dot2_f32_f16 v92, v13, v5, v92
	;;#ASMEND
	;;#ASMSTART
	v_dot2_f32_f16 v92, v14, v6, v92
	;;#ASMEND
	;;#ASMSTART
	v_dot2_f32_f16 v92, v15, v7, v92
	;;#ASMEND
	;;#ASMSTART
	v_dot2_f32_f16 v92, v16, v8, v92
	;;#ASMEND
	;; [unrolled: 13-line block ×5, first 2 shown]
	;;#ASMSTART
	v_dot2_f32_f16 v96, v109, v5, v96
	;;#ASMEND
	;;#ASMSTART
	v_dot2_f32_f16 v96, v110, v6, v96
	;;#ASMEND
	;; [unrolled: 3-line block ×12, first 2 shown]
	s_waitcnt lgkmcnt(1)
	;;#ASMSTART
	v_dot2_f32_f16 v102, v113, v1, v102
	;;#ASMEND
	;;#ASMSTART
	v_dot2_f32_f16 v102, v114, v2, v102
	;;#ASMEND
	;; [unrolled: 3-line block ×16, first 2 shown]
	s_waitcnt lgkmcnt(0)
	;;#ASMSTART
	v_dot2_f32_f16 v104, v117, v1, v104
	;;#ASMEND
	;;#ASMSTART
	v_dot2_f32_f16 v104, v118, v2, v104
	;;#ASMEND
	;; [unrolled: 3-line block ×16, first 2 shown]
	ds_read_b128 v[1:4], v40 offset:96
	ds_read_b128 v[5:8], v87 offset:96
	;; [unrolled: 1-line block ×8, first 2 shown]
	s_waitcnt lgkmcnt(6)
	;;#ASMSTART
	v_dot2_f32_f16 v95, v1, v5, v95
	;;#ASMEND
	;;#ASMSTART
	v_dot2_f32_f16 v95, v2, v6, v95
	;;#ASMEND
	;;#ASMSTART
	v_dot2_f32_f16 v95, v3, v7, v95
	;;#ASMEND
	;;#ASMSTART
	v_dot2_f32_f16 v95, v4, v8, v95
	;;#ASMEND
	s_waitcnt lgkmcnt(5)
	;;#ASMSTART
	v_dot2_f32_f16 v92, v1, v9, v92
	;;#ASMEND
	;;#ASMSTART
	v_dot2_f32_f16 v92, v2, v10, v92
	;;#ASMEND
	;;#ASMSTART
	v_dot2_f32_f16 v92, v3, v11, v92
	;;#ASMEND
	;;#ASMSTART
	v_dot2_f32_f16 v92, v4, v12, v92
	;;#ASMEND
	;; [unrolled: 13-line block ×5, first 2 shown]
	;;#ASMSTART
	v_dot2_f32_f16 v96, v109, v9, v96
	;;#ASMEND
	;;#ASMSTART
	v_dot2_f32_f16 v96, v110, v10, v96
	;;#ASMEND
	;; [unrolled: 3-line block ×12, first 2 shown]
	s_waitcnt lgkmcnt(1)
	;;#ASMSTART
	v_dot2_f32_f16 v102, v113, v5, v102
	;;#ASMEND
	;;#ASMSTART
	v_dot2_f32_f16 v102, v114, v6, v102
	;;#ASMEND
	;; [unrolled: 3-line block ×16, first 2 shown]
	s_waitcnt lgkmcnt(0)
	;;#ASMSTART
	v_dot2_f32_f16 v104, v117, v5, v104
	;;#ASMEND
	;;#ASMSTART
	v_dot2_f32_f16 v104, v118, v6, v104
	;;#ASMEND
	;;#ASMSTART
	v_dot2_f32_f16 v104, v119, v7, v104
	;;#ASMEND
	;;#ASMSTART
	v_dot2_f32_f16 v104, v120, v8, v104
	;;#ASMEND
	;;#ASMSTART
	v_dot2_f32_f16 v103, v117, v9, v103
	;;#ASMEND
	;;#ASMSTART
	v_dot2_f32_f16 v103, v118, v10, v103
	;;#ASMEND
	;;#ASMSTART
	v_dot2_f32_f16 v103, v119, v11, v103
	;;#ASMEND
	;;#ASMSTART
	v_dot2_f32_f16 v103, v120, v12, v103
	;;#ASMEND
	;;#ASMSTART
	v_dot2_f32_f16 v101, v117, v13, v101
	;;#ASMEND
	;;#ASMSTART
	v_dot2_f32_f16 v101, v118, v14, v101
	;;#ASMEND
	;;#ASMSTART
	v_dot2_f32_f16 v101, v119, v15, v101
	;;#ASMEND
	;;#ASMSTART
	v_dot2_f32_f16 v101, v120, v16, v101
	;;#ASMEND
	;;#ASMSTART
	v_dot2_f32_f16 v98, v117, v105, v98
	;;#ASMEND
	;;#ASMSTART
	v_dot2_f32_f16 v98, v118, v106, v98
	;;#ASMEND
	;;#ASMSTART
	v_dot2_f32_f16 v98, v119, v107, v98
	;;#ASMEND
	;;#ASMSTART
	v_dot2_f32_f16 v98, v120, v108, v98
	;;#ASMEND
	ds_read_b128 v[1:4], v40 offset:112
	ds_read_b128 v[5:8], v87 offset:112
	;; [unrolled: 1-line block ×8, first 2 shown]
	s_waitcnt lgkmcnt(6)
	;;#ASMSTART
	v_dot2_f32_f16 v95, v1, v5, v95
	;;#ASMEND
	;;#ASMSTART
	v_dot2_f32_f16 v95, v2, v6, v95
	;;#ASMEND
	;;#ASMSTART
	v_dot2_f32_f16 v95, v3, v7, v95
	;;#ASMEND
	;;#ASMSTART
	v_dot2_f32_f16 v95, v4, v8, v95
	;;#ASMEND
	s_waitcnt lgkmcnt(5)
	;;#ASMSTART
	v_dot2_f32_f16 v92, v1, v9, v92
	;;#ASMEND
	;;#ASMSTART
	v_dot2_f32_f16 v92, v2, v10, v92
	;;#ASMEND
	;;#ASMSTART
	v_dot2_f32_f16 v92, v3, v11, v92
	;;#ASMEND
	;;#ASMSTART
	v_dot2_f32_f16 v92, v4, v12, v92
	;;#ASMEND
	;; [unrolled: 13-line block ×5, first 2 shown]
	;;#ASMSTART
	v_dot2_f32_f16 v96, v109, v9, v96
	;;#ASMEND
	;;#ASMSTART
	v_dot2_f32_f16 v96, v110, v10, v96
	;;#ASMEND
	;; [unrolled: 3-line block ×11, first 2 shown]
	s_lshr_b32 s0, s24, 1
	;;#ASMSTART
	v_dot2_f32_f16 v82, v112, v108, v82
	;;#ASMEND
	s_waitcnt lgkmcnt(1)
	;;#ASMSTART
	v_dot2_f32_f16 v102, v113, v5, v102
	;;#ASMEND
	;;#ASMSTART
	v_dot2_f32_f16 v102, v114, v6, v102
	;;#ASMEND
	s_lshl_b64 s[26:27], s[0:1], 2
	;;#ASMSTART
	v_dot2_f32_f16 v102, v115, v7, v102
	;;#ASMEND
	;;#ASMSTART
	v_dot2_f32_f16 v102, v116, v8, v102
	;;#ASMEND
	;; [unrolled: 3-line block ×3, first 2 shown]
	s_add_u32 s0, s15, s26
	;;#ASMSTART
	v_dot2_f32_f16 v100, v114, v10, v100
	;;#ASMEND
	;;#ASMSTART
	v_dot2_f32_f16 v100, v115, v11, v100
	;;#ASMEND
	s_addc_u32 s25, s18, s27
	v_add_co_u32 v121, vcc_lo, s0, v19
	;;#ASMSTART
	v_dot2_f32_f16 v100, v116, v12, v100
	;;#ASMEND
	;;#ASMSTART
	v_dot2_f32_f16 v97, v113, v13, v97
	;;#ASMEND
	;; [unrolled: 3-line block ×3, first 2 shown]
	v_add_co_ci_u32_e64 v122, null, s25, v20, vcc_lo
	v_add_co_u32 v123, vcc_lo, s0, v21
	;;#ASMSTART
	v_dot2_f32_f16 v97, v115, v15, v97
	;;#ASMEND
	;;#ASMSTART
	v_dot2_f32_f16 v97, v116, v16, v97
	;;#ASMEND
	;; [unrolled: 3-line block ×3, first 2 shown]
	v_add_co_ci_u32_e64 v124, null, s25, v22, vcc_lo
	v_add_co_u32 v125, vcc_lo, s0, v23
	;;#ASMSTART
	v_dot2_f32_f16 v94, v114, v106, v94
	;;#ASMEND
	;;#ASMSTART
	v_dot2_f32_f16 v94, v115, v107, v94
	;;#ASMEND
	v_add_co_ci_u32_e64 v126, null, s25, v24, vcc_lo
	v_add_co_u32 v127, vcc_lo, s0, v25
	;;#ASMSTART
	v_dot2_f32_f16 v94, v116, v108, v94
	;;#ASMEND
	s_waitcnt lgkmcnt(0)
	;;#ASMSTART
	v_dot2_f32_f16 v104, v117, v5, v104
	;;#ASMEND
	;;#ASMSTART
	v_dot2_f32_f16 v104, v118, v6, v104
	;;#ASMEND
	v_add_co_ci_u32_e64 v128, null, s25, v26, vcc_lo
	v_add_co_u32 v121, vcc_lo, v121, v46
	;;#ASMSTART
	v_dot2_f32_f16 v104, v119, v7, v104
	;;#ASMEND
	;;#ASMSTART
	v_dot2_f32_f16 v104, v120, v8, v104
	;;#ASMEND
	;; [unrolled: 3-line block ×3, first 2 shown]
	v_add_co_ci_u32_e64 v122, null, 0, v122, vcc_lo
	v_add_co_u32 v123, vcc_lo, v123, v46
	;;#ASMSTART
	v_dot2_f32_f16 v103, v118, v10, v103
	;;#ASMEND
	;;#ASMSTART
	v_dot2_f32_f16 v103, v119, v11, v103
	;;#ASMEND
	v_add_co_ci_u32_e64 v124, null, 0, v124, vcc_lo
	v_add_co_u32 v125, vcc_lo, v125, v46
	;;#ASMSTART
	v_dot2_f32_f16 v103, v120, v12, v103
	;;#ASMEND
	;;#ASMSTART
	v_dot2_f32_f16 v101, v117, v13, v101
	;;#ASMEND
	;; [unrolled: 3-line block ×3, first 2 shown]
	v_add_co_ci_u32_e64 v126, null, 0, v126, vcc_lo
	v_add_co_u32 v127, vcc_lo, v127, v46
	;;#ASMSTART
	v_dot2_f32_f16 v101, v119, v15, v101
	;;#ASMEND
	;;#ASMSTART
	v_dot2_f32_f16 v101, v120, v16, v101
	;;#ASMEND
	;; [unrolled: 3-line block ×3, first 2 shown]
	v_add_co_ci_u32_e64 v128, null, 0, v128, vcc_lo
	;;#ASMSTART
	v_dot2_f32_f16 v98, v118, v106, v98
	;;#ASMEND
	;;#ASMSTART
	v_dot2_f32_f16 v98, v119, v107, v98
	;;#ASMEND
	;;#ASMSTART
	v_dot2_f32_f16 v98, v120, v108, v98
	;;#ASMEND
	s_barrier
	buffer_gl0_inv
	s_clause 0x3
	global_load_dwordx4 v[2:5], v[121:122], off
	global_load_dwordx4 v[6:9], v[123:124], off
	;; [unrolled: 1-line block ×4, first 2 shown]
	v_lshl_add_u32 v1, s24, 1, v34
	s_waitcnt vmcnt(3)
	ds_write_b128 v36, v[2:5]
	s_waitcnt vmcnt(2)
	ds_write_b128 v37, v[6:9]
	s_waitcnt vmcnt(1)
	ds_write_b128 v38, v[10:13]
	s_waitcnt vmcnt(0)
	ds_write_b128 v39, v[105:108]
	s_waitcnt lgkmcnt(0)
	s_barrier
	buffer_gl0_inv
	ds_read_b128 v[2:5], v40
	ds_read_b128 v[6:9], v1
	ds_read_b128 v[10:13], v1 offset:1152
	ds_read_b128 v[105:108], v1 offset:2304
	;; [unrolled: 1-line block ×6, first 2 shown]
	s_waitcnt lgkmcnt(6)
	;;#ASMSTART
	v_dot2_f32_f16 v95, v2, v6, v95
	;;#ASMEND
	;;#ASMSTART
	v_dot2_f32_f16 v95, v3, v7, v95
	;;#ASMEND
	;;#ASMSTART
	v_dot2_f32_f16 v95, v4, v8, v95
	;;#ASMEND
	;;#ASMSTART
	v_dot2_f32_f16 v95, v5, v9, v95
	;;#ASMEND
	s_waitcnt lgkmcnt(5)
	;;#ASMSTART
	v_dot2_f32_f16 v92, v2, v10, v92
	;;#ASMEND
	;;#ASMSTART
	v_dot2_f32_f16 v92, v3, v11, v92
	;;#ASMEND
	;;#ASMSTART
	v_dot2_f32_f16 v92, v4, v12, v92
	;;#ASMEND
	;;#ASMSTART
	v_dot2_f32_f16 v92, v5, v13, v92
	;;#ASMEND
	;; [unrolled: 13-line block ×5, first 2 shown]
	;;#ASMSTART
	v_dot2_f32_f16 v96, v113, v10, v96
	;;#ASMEND
	;;#ASMSTART
	v_dot2_f32_f16 v96, v114, v11, v96
	;;#ASMEND
	;; [unrolled: 3-line block ×12, first 2 shown]
	s_waitcnt lgkmcnt(1)
	;;#ASMSTART
	v_dot2_f32_f16 v102, v117, v6, v102
	;;#ASMEND
	;;#ASMSTART
	v_dot2_f32_f16 v102, v118, v7, v102
	;;#ASMEND
	;; [unrolled: 3-line block ×16, first 2 shown]
	s_waitcnt lgkmcnt(0)
	;;#ASMSTART
	v_dot2_f32_f16 v104, v121, v6, v104
	;;#ASMEND
	;;#ASMSTART
	v_dot2_f32_f16 v104, v122, v7, v104
	;;#ASMEND
	;;#ASMSTART
	v_dot2_f32_f16 v104, v123, v8, v104
	;;#ASMEND
	;;#ASMSTART
	v_dot2_f32_f16 v104, v124, v9, v104
	;;#ASMEND
	;;#ASMSTART
	v_dot2_f32_f16 v103, v121, v10, v103
	;;#ASMEND
	;;#ASMSTART
	v_dot2_f32_f16 v103, v122, v11, v103
	;;#ASMEND
	;;#ASMSTART
	v_dot2_f32_f16 v103, v123, v12, v103
	;;#ASMEND
	;;#ASMSTART
	v_dot2_f32_f16 v103, v124, v13, v103
	;;#ASMEND
	;;#ASMSTART
	v_dot2_f32_f16 v101, v121, v105, v101
	;;#ASMEND
	;;#ASMSTART
	v_dot2_f32_f16 v101, v122, v106, v101
	;;#ASMEND
	;;#ASMSTART
	v_dot2_f32_f16 v101, v123, v107, v101
	;;#ASMEND
	;;#ASMSTART
	v_dot2_f32_f16 v101, v124, v108, v101
	;;#ASMEND
	;;#ASMSTART
	v_dot2_f32_f16 v98, v121, v109, v98
	;;#ASMEND
	;;#ASMSTART
	v_dot2_f32_f16 v98, v122, v110, v98
	;;#ASMEND
	;;#ASMSTART
	v_dot2_f32_f16 v98, v123, v111, v98
	;;#ASMEND
	;;#ASMSTART
	v_dot2_f32_f16 v98, v124, v112, v98
	;;#ASMEND
	ds_read_b128 v[2:5], v40 offset:16
	ds_read_b128 v[6:9], v1 offset:16
	;; [unrolled: 1-line block ×8, first 2 shown]
	s_waitcnt lgkmcnt(6)
	;;#ASMSTART
	v_dot2_f32_f16 v95, v2, v6, v95
	;;#ASMEND
	;;#ASMSTART
	v_dot2_f32_f16 v95, v3, v7, v95
	;;#ASMEND
	;;#ASMSTART
	v_dot2_f32_f16 v95, v4, v8, v95
	;;#ASMEND
	;;#ASMSTART
	v_dot2_f32_f16 v95, v5, v9, v95
	;;#ASMEND
	s_waitcnt lgkmcnt(5)
	;;#ASMSTART
	v_dot2_f32_f16 v92, v2, v10, v92
	;;#ASMEND
	;;#ASMSTART
	v_dot2_f32_f16 v92, v3, v11, v92
	;;#ASMEND
	;;#ASMSTART
	v_dot2_f32_f16 v92, v4, v12, v92
	;;#ASMEND
	;;#ASMSTART
	v_dot2_f32_f16 v92, v5, v13, v92
	;;#ASMEND
	;; [unrolled: 13-line block ×5, first 2 shown]
	;;#ASMSTART
	v_dot2_f32_f16 v96, v113, v10, v96
	;;#ASMEND
	;;#ASMSTART
	v_dot2_f32_f16 v96, v114, v11, v96
	;;#ASMEND
	;;#ASMSTART
	v_dot2_f32_f16 v96, v115, v12, v96
	;;#ASMEND
	;;#ASMSTART
	v_dot2_f32_f16 v96, v116, v13, v96
	;;#ASMEND
	;;#ASMSTART
	v_dot2_f32_f16 v93, v113, v105, v93
	;;#ASMEND
	;;#ASMSTART
	v_dot2_f32_f16 v93, v114, v106, v93
	;;#ASMEND
	;;#ASMSTART
	v_dot2_f32_f16 v93, v115, v107, v93
	;;#ASMEND
	;;#ASMSTART
	v_dot2_f32_f16 v93, v116, v108, v93
	;;#ASMEND
	;;#ASMSTART
	v_dot2_f32_f16 v82, v113, v109, v82
	;;#ASMEND
	;;#ASMSTART
	v_dot2_f32_f16 v82, v114, v110, v82
	;;#ASMEND
	;;#ASMSTART
	v_dot2_f32_f16 v82, v115, v111, v82
	;;#ASMEND
	;;#ASMSTART
	v_dot2_f32_f16 v82, v116, v112, v82
	;;#ASMEND
	s_waitcnt lgkmcnt(1)
	;;#ASMSTART
	v_dot2_f32_f16 v102, v117, v6, v102
	;;#ASMEND
	;;#ASMSTART
	v_dot2_f32_f16 v102, v118, v7, v102
	;;#ASMEND
	;; [unrolled: 3-line block ×16, first 2 shown]
	s_waitcnt lgkmcnt(0)
	;;#ASMSTART
	v_dot2_f32_f16 v104, v121, v6, v104
	;;#ASMEND
	;;#ASMSTART
	v_dot2_f32_f16 v104, v122, v7, v104
	;;#ASMEND
	;; [unrolled: 3-line block ×16, first 2 shown]
	ds_read_b128 v[2:5], v40 offset:32
	ds_read_b128 v[6:9], v1 offset:32
	;; [unrolled: 1-line block ×8, first 2 shown]
	s_waitcnt lgkmcnt(6)
	;;#ASMSTART
	v_dot2_f32_f16 v95, v2, v6, v95
	;;#ASMEND
	;;#ASMSTART
	v_dot2_f32_f16 v95, v3, v7, v95
	;;#ASMEND
	;;#ASMSTART
	v_dot2_f32_f16 v95, v4, v8, v95
	;;#ASMEND
	;;#ASMSTART
	v_dot2_f32_f16 v95, v5, v9, v95
	;;#ASMEND
	s_waitcnt lgkmcnt(5)
	;;#ASMSTART
	v_dot2_f32_f16 v92, v2, v10, v92
	;;#ASMEND
	;;#ASMSTART
	v_dot2_f32_f16 v92, v3, v11, v92
	;;#ASMEND
	;;#ASMSTART
	v_dot2_f32_f16 v92, v4, v12, v92
	;;#ASMEND
	;;#ASMSTART
	v_dot2_f32_f16 v92, v5, v13, v92
	;;#ASMEND
	;; [unrolled: 13-line block ×5, first 2 shown]
	;;#ASMSTART
	v_dot2_f32_f16 v96, v113, v10, v96
	;;#ASMEND
	;;#ASMSTART
	v_dot2_f32_f16 v96, v114, v11, v96
	;;#ASMEND
	;; [unrolled: 3-line block ×12, first 2 shown]
	s_waitcnt lgkmcnt(1)
	;;#ASMSTART
	v_dot2_f32_f16 v102, v117, v6, v102
	;;#ASMEND
	;;#ASMSTART
	v_dot2_f32_f16 v102, v118, v7, v102
	;;#ASMEND
	;; [unrolled: 3-line block ×16, first 2 shown]
	s_waitcnt lgkmcnt(0)
	;;#ASMSTART
	v_dot2_f32_f16 v104, v121, v6, v104
	;;#ASMEND
	;;#ASMSTART
	v_dot2_f32_f16 v104, v122, v7, v104
	;;#ASMEND
	;; [unrolled: 3-line block ×16, first 2 shown]
	ds_read_b128 v[2:5], v40 offset:48
	ds_read_b128 v[6:9], v1 offset:48
	;; [unrolled: 1-line block ×8, first 2 shown]
	s_waitcnt lgkmcnt(6)
	;;#ASMSTART
	v_dot2_f32_f16 v95, v2, v6, v95
	;;#ASMEND
	;;#ASMSTART
	v_dot2_f32_f16 v95, v3, v7, v95
	;;#ASMEND
	;;#ASMSTART
	v_dot2_f32_f16 v95, v4, v8, v95
	;;#ASMEND
	;;#ASMSTART
	v_dot2_f32_f16 v95, v5, v9, v95
	;;#ASMEND
	s_waitcnt lgkmcnt(5)
	;;#ASMSTART
	v_dot2_f32_f16 v92, v2, v10, v92
	;;#ASMEND
	;;#ASMSTART
	v_dot2_f32_f16 v92, v3, v11, v92
	;;#ASMEND
	;;#ASMSTART
	v_dot2_f32_f16 v92, v4, v12, v92
	;;#ASMEND
	;;#ASMSTART
	v_dot2_f32_f16 v92, v5, v13, v92
	;;#ASMEND
	;; [unrolled: 13-line block ×5, first 2 shown]
	;;#ASMSTART
	v_dot2_f32_f16 v96, v113, v10, v96
	;;#ASMEND
	;;#ASMSTART
	v_dot2_f32_f16 v96, v114, v11, v96
	;;#ASMEND
	;; [unrolled: 3-line block ×12, first 2 shown]
	s_waitcnt lgkmcnt(1)
	;;#ASMSTART
	v_dot2_f32_f16 v102, v117, v6, v102
	;;#ASMEND
	;;#ASMSTART
	v_dot2_f32_f16 v102, v118, v7, v102
	;;#ASMEND
	;; [unrolled: 3-line block ×16, first 2 shown]
	s_waitcnt lgkmcnt(0)
	;;#ASMSTART
	v_dot2_f32_f16 v104, v121, v6, v104
	;;#ASMEND
	;;#ASMSTART
	v_dot2_f32_f16 v104, v122, v7, v104
	;;#ASMEND
	;; [unrolled: 3-line block ×16, first 2 shown]
	ds_read_b128 v[2:5], v40 offset:64
	ds_read_b128 v[6:9], v1 offset:64
	;; [unrolled: 1-line block ×8, first 2 shown]
	s_waitcnt lgkmcnt(6)
	;;#ASMSTART
	v_dot2_f32_f16 v95, v2, v6, v95
	;;#ASMEND
	;;#ASMSTART
	v_dot2_f32_f16 v95, v3, v7, v95
	;;#ASMEND
	;;#ASMSTART
	v_dot2_f32_f16 v95, v4, v8, v95
	;;#ASMEND
	;;#ASMSTART
	v_dot2_f32_f16 v95, v5, v9, v95
	;;#ASMEND
	s_waitcnt lgkmcnt(5)
	;;#ASMSTART
	v_dot2_f32_f16 v92, v2, v10, v92
	;;#ASMEND
	;;#ASMSTART
	v_dot2_f32_f16 v92, v3, v11, v92
	;;#ASMEND
	;;#ASMSTART
	v_dot2_f32_f16 v92, v4, v12, v92
	;;#ASMEND
	;;#ASMSTART
	v_dot2_f32_f16 v92, v5, v13, v92
	;;#ASMEND
	;; [unrolled: 13-line block ×5, first 2 shown]
	;;#ASMSTART
	v_dot2_f32_f16 v96, v113, v10, v96
	;;#ASMEND
	;;#ASMSTART
	v_dot2_f32_f16 v96, v114, v11, v96
	;;#ASMEND
	;; [unrolled: 3-line block ×12, first 2 shown]
	s_waitcnt lgkmcnt(1)
	;;#ASMSTART
	v_dot2_f32_f16 v102, v117, v6, v102
	;;#ASMEND
	;;#ASMSTART
	v_dot2_f32_f16 v102, v118, v7, v102
	;;#ASMEND
	;; [unrolled: 3-line block ×16, first 2 shown]
	s_waitcnt lgkmcnt(0)
	;;#ASMSTART
	v_dot2_f32_f16 v104, v121, v6, v104
	;;#ASMEND
	;;#ASMSTART
	v_dot2_f32_f16 v104, v122, v7, v104
	;;#ASMEND
	;; [unrolled: 3-line block ×16, first 2 shown]
	ds_read_b128 v[2:5], v40 offset:80
	ds_read_b128 v[6:9], v1 offset:80
	;; [unrolled: 1-line block ×8, first 2 shown]
	s_waitcnt lgkmcnt(6)
	;;#ASMSTART
	v_dot2_f32_f16 v95, v2, v6, v95
	;;#ASMEND
	;;#ASMSTART
	v_dot2_f32_f16 v95, v3, v7, v95
	;;#ASMEND
	;;#ASMSTART
	v_dot2_f32_f16 v95, v4, v8, v95
	;;#ASMEND
	;;#ASMSTART
	v_dot2_f32_f16 v95, v5, v9, v95
	;;#ASMEND
	s_waitcnt lgkmcnt(5)
	;;#ASMSTART
	v_dot2_f32_f16 v92, v2, v10, v92
	;;#ASMEND
	;;#ASMSTART
	v_dot2_f32_f16 v92, v3, v11, v92
	;;#ASMEND
	;;#ASMSTART
	v_dot2_f32_f16 v92, v4, v12, v92
	;;#ASMEND
	;;#ASMSTART
	v_dot2_f32_f16 v92, v5, v13, v92
	;;#ASMEND
	s_waitcnt lgkmcnt(4)
	;;#ASMSTART
	v_dot2_f32_f16 v81, v2, v105, v81
	;;#ASMEND
	;;#ASMSTART
	v_dot2_f32_f16 v81, v3, v106, v81
	;;#ASMEND
	;;#ASMSTART
	v_dot2_f32_f16 v81, v4, v107, v81
	;;#ASMEND
	;;#ASMSTART
	v_dot2_f32_f16 v81, v5, v108, v81
	;;#ASMEND
	s_waitcnt lgkmcnt(3)
	;;#ASMSTART
	v_dot2_f32_f16 v73, v2, v109, v73
	;;#ASMEND
	;;#ASMSTART
	v_dot2_f32_f16 v73, v3, v110, v73
	;;#ASMEND
	;;#ASMSTART
	v_dot2_f32_f16 v73, v4, v111, v73
	;;#ASMEND
	;;#ASMSTART
	v_dot2_f32_f16 v73, v5, v112, v73
	;;#ASMEND
	s_waitcnt lgkmcnt(2)
	;;#ASMSTART
	v_dot2_f32_f16 v99, v113, v6, v99
	;;#ASMEND
	;;#ASMSTART
	v_dot2_f32_f16 v99, v114, v7, v99
	;;#ASMEND
	;;#ASMSTART
	v_dot2_f32_f16 v99, v115, v8, v99
	;;#ASMEND
	;;#ASMSTART
	v_dot2_f32_f16 v99, v116, v9, v99
	;;#ASMEND
	;;#ASMSTART
	v_dot2_f32_f16 v96, v113, v10, v96
	;;#ASMEND
	;;#ASMSTART
	v_dot2_f32_f16 v96, v114, v11, v96
	;;#ASMEND
	;; [unrolled: 3-line block ×12, first 2 shown]
	s_waitcnt lgkmcnt(1)
	;;#ASMSTART
	v_dot2_f32_f16 v102, v117, v6, v102
	;;#ASMEND
	;;#ASMSTART
	v_dot2_f32_f16 v102, v118, v7, v102
	;;#ASMEND
	;; [unrolled: 3-line block ×16, first 2 shown]
	s_waitcnt lgkmcnt(0)
	;;#ASMSTART
	v_dot2_f32_f16 v104, v121, v6, v104
	;;#ASMEND
	;;#ASMSTART
	v_dot2_f32_f16 v104, v122, v7, v104
	;;#ASMEND
	;; [unrolled: 3-line block ×16, first 2 shown]
	ds_read_b128 v[2:5], v40 offset:96
	ds_read_b128 v[6:9], v1 offset:96
	;; [unrolled: 1-line block ×8, first 2 shown]
	s_waitcnt lgkmcnt(6)
	;;#ASMSTART
	v_dot2_f32_f16 v95, v2, v6, v95
	;;#ASMEND
	;;#ASMSTART
	v_dot2_f32_f16 v95, v3, v7, v95
	;;#ASMEND
	;;#ASMSTART
	v_dot2_f32_f16 v95, v4, v8, v95
	;;#ASMEND
	;;#ASMSTART
	v_dot2_f32_f16 v95, v5, v9, v95
	;;#ASMEND
	s_waitcnt lgkmcnt(5)
	;;#ASMSTART
	v_dot2_f32_f16 v92, v2, v10, v92
	;;#ASMEND
	;;#ASMSTART
	v_dot2_f32_f16 v92, v3, v11, v92
	;;#ASMEND
	;;#ASMSTART
	v_dot2_f32_f16 v92, v4, v12, v92
	;;#ASMEND
	;;#ASMSTART
	v_dot2_f32_f16 v92, v5, v13, v92
	;;#ASMEND
	;; [unrolled: 13-line block ×5, first 2 shown]
	;;#ASMSTART
	v_dot2_f32_f16 v96, v113, v10, v96
	;;#ASMEND
	;;#ASMSTART
	v_dot2_f32_f16 v96, v114, v11, v96
	;;#ASMEND
	;;#ASMSTART
	v_dot2_f32_f16 v96, v115, v12, v96
	;;#ASMEND
	;;#ASMSTART
	v_dot2_f32_f16 v96, v116, v13, v96
	;;#ASMEND
	;;#ASMSTART
	v_dot2_f32_f16 v93, v113, v105, v93
	;;#ASMEND
	;;#ASMSTART
	v_dot2_f32_f16 v93, v114, v106, v93
	;;#ASMEND
	;;#ASMSTART
	v_dot2_f32_f16 v93, v115, v107, v93
	;;#ASMEND
	;;#ASMSTART
	v_dot2_f32_f16 v93, v116, v108, v93
	;;#ASMEND
	;;#ASMSTART
	v_dot2_f32_f16 v82, v113, v109, v82
	;;#ASMEND
	;;#ASMSTART
	v_dot2_f32_f16 v82, v114, v110, v82
	;;#ASMEND
	;;#ASMSTART
	v_dot2_f32_f16 v82, v115, v111, v82
	;;#ASMEND
	;;#ASMSTART
	v_dot2_f32_f16 v82, v116, v112, v82
	;;#ASMEND
	s_waitcnt lgkmcnt(1)
	;;#ASMSTART
	v_dot2_f32_f16 v102, v117, v6, v102
	;;#ASMEND
	;;#ASMSTART
	v_dot2_f32_f16 v102, v118, v7, v102
	;;#ASMEND
	;; [unrolled: 3-line block ×16, first 2 shown]
	s_waitcnt lgkmcnt(0)
	;;#ASMSTART
	v_dot2_f32_f16 v104, v121, v6, v104
	;;#ASMEND
	;;#ASMSTART
	v_dot2_f32_f16 v104, v122, v7, v104
	;;#ASMEND
	;; [unrolled: 3-line block ×16, first 2 shown]
	ds_read_b128 v[2:5], v40 offset:112
	ds_read_b128 v[6:9], v1 offset:112
	;; [unrolled: 1-line block ×8, first 2 shown]
	s_waitcnt lgkmcnt(6)
	;;#ASMSTART
	v_dot2_f32_f16 v95, v2, v6, v95
	;;#ASMEND
	;;#ASMSTART
	v_dot2_f32_f16 v95, v3, v7, v95
	;;#ASMEND
	;;#ASMSTART
	v_dot2_f32_f16 v95, v4, v8, v95
	;;#ASMEND
	;;#ASMSTART
	v_dot2_f32_f16 v95, v5, v9, v95
	;;#ASMEND
	s_waitcnt lgkmcnt(5)
	;;#ASMSTART
	v_dot2_f32_f16 v92, v2, v10, v92
	;;#ASMEND
	;;#ASMSTART
	v_dot2_f32_f16 v92, v3, v11, v92
	;;#ASMEND
	;;#ASMSTART
	v_dot2_f32_f16 v92, v4, v12, v92
	;;#ASMEND
	;;#ASMSTART
	v_dot2_f32_f16 v92, v5, v13, v92
	;;#ASMEND
	s_waitcnt lgkmcnt(4)
	;;#ASMSTART
	v_dot2_f32_f16 v81, v2, v105, v81
	;;#ASMEND
	;;#ASMSTART
	v_dot2_f32_f16 v81, v3, v106, v81
	;;#ASMEND
	;;#ASMSTART
	v_dot2_f32_f16 v81, v4, v107, v81
	;;#ASMEND
	;;#ASMSTART
	v_dot2_f32_f16 v81, v5, v108, v81
	;;#ASMEND
	s_waitcnt lgkmcnt(3)
	;;#ASMSTART
	v_dot2_f32_f16 v73, v2, v109, v73
	;;#ASMEND
	;;#ASMSTART
	v_dot2_f32_f16 v73, v3, v110, v73
	;;#ASMEND
	;;#ASMSTART
	v_dot2_f32_f16 v73, v4, v111, v73
	;;#ASMEND
	;;#ASMSTART
	v_dot2_f32_f16 v73, v5, v112, v73
	;;#ASMEND
	s_waitcnt lgkmcnt(2)
	;;#ASMSTART
	v_dot2_f32_f16 v99, v113, v6, v99
	;;#ASMEND
	;;#ASMSTART
	v_dot2_f32_f16 v99, v114, v7, v99
	;;#ASMEND
	;;#ASMSTART
	v_dot2_f32_f16 v99, v115, v8, v99
	;;#ASMEND
	;;#ASMSTART
	v_dot2_f32_f16 v99, v116, v9, v99
	;;#ASMEND
	;;#ASMSTART
	v_dot2_f32_f16 v96, v113, v10, v96
	;;#ASMEND
	;;#ASMSTART
	v_dot2_f32_f16 v96, v114, v11, v96
	;;#ASMEND
	;; [unrolled: 3-line block ×12, first 2 shown]
	s_waitcnt lgkmcnt(1)
	;;#ASMSTART
	v_dot2_f32_f16 v102, v117, v6, v102
	;;#ASMEND
	;;#ASMSTART
	v_dot2_f32_f16 v102, v118, v7, v102
	;;#ASMEND
	;;#ASMSTART
	v_dot2_f32_f16 v102, v119, v8, v102
	;;#ASMEND
	;;#ASMSTART
	v_dot2_f32_f16 v102, v120, v9, v102
	;;#ASMEND
	;;#ASMSTART
	v_dot2_f32_f16 v100, v117, v10, v100
	;;#ASMEND
	;;#ASMSTART
	v_dot2_f32_f16 v100, v118, v11, v100
	;;#ASMEND
	;;#ASMSTART
	v_dot2_f32_f16 v100, v119, v12, v100
	;;#ASMEND
	;;#ASMSTART
	v_dot2_f32_f16 v100, v120, v13, v100
	;;#ASMEND
	;;#ASMSTART
	v_dot2_f32_f16 v97, v117, v105, v97
	;;#ASMEND
	;;#ASMSTART
	v_dot2_f32_f16 v97, v118, v106, v97
	;;#ASMEND
	;;#ASMSTART
	v_dot2_f32_f16 v97, v119, v107, v97
	;;#ASMEND
	;;#ASMSTART
	v_dot2_f32_f16 v97, v120, v108, v97
	;;#ASMEND
	;;#ASMSTART
	v_dot2_f32_f16 v94, v117, v109, v94
	;;#ASMEND
	;;#ASMSTART
	v_dot2_f32_f16 v94, v118, v110, v94
	;;#ASMEND
	;;#ASMSTART
	v_dot2_f32_f16 v94, v119, v111, v94
	;;#ASMEND
	;;#ASMSTART
	v_dot2_f32_f16 v94, v120, v112, v94
	;;#ASMEND
	s_waitcnt lgkmcnt(0)
	;;#ASMSTART
	v_dot2_f32_f16 v104, v121, v6, v104
	;;#ASMEND
	;;#ASMSTART
	v_dot2_f32_f16 v104, v122, v7, v104
	;;#ASMEND
	;; [unrolled: 3-line block ×13, first 2 shown]
	s_cmpk_gt_u32 s19, 0x17f
	;;#ASMSTART
	v_dot2_f32_f16 v98, v122, v110, v98
	;;#ASMEND
	s_mov_b32 s0, -1
	;;#ASMSTART
	v_dot2_f32_f16 v98, v123, v111, v98
	;;#ASMEND
	;;#ASMSTART
	v_dot2_f32_f16 v98, v124, v112, v98
	;;#ASMEND
	s_cbranch_scc1 .LBB0_18
; %bb.20:                               ;   in Loop: Header=BB0_19 Depth=2
	s_barrier
	s_addk_i32 s19, 0xc0
	s_mov_b32 s0, 0
	buffer_gl0_inv
	s_branch .LBB0_18
.LBB0_21:                               ;   in Loop: Header=BB0_17 Depth=1
	v_add_nc_u32_e32 v1, s8, v18
	s_mul_hi_i32 s19, s8, s9
	s_mul_i32 s18, s8, s9
	v_lshlrev_b32_e32 v87, 2, v32
	s_lshl_b64 s[18:19], s[18:19], 2
	v_ashrrev_i32_e32 v2, 31, v1
	s_add_u32 s0, s12, s18
	s_addc_u32 s15, s13, s19
	v_add_nc_u32_e32 v122, v41, v33
	v_lshlrev_b64 v[1:2], 1, v[1:2]
	v_add_co_u32 v4, vcc_lo, s34, v1
	v_add_co_ci_u32_e64 v5, null, s35, v2, vcc_lo
	s_clause 0x3
	global_load_ushort v1, v[4:5], off
	global_load_ushort v2, v[4:5], off offset:64
	global_load_ushort v3, v[4:5], off offset:128
	;; [unrolled: 1-line block ×3, first 2 shown]
	v_add_co_u32 v5, vcc_lo, s0, v27
	v_add_co_ci_u32_e64 v6, null, s15, v28, vcc_lo
	s_waitcnt vmcnt(0)
	v_add_co_u32 v9, vcc_lo, v5, v87
	v_add_co_ci_u32_e64 v10, null, 0, v6, vcc_lo
	s_barrier
	buffer_gl0_inv
	s_clause 0x1
	global_load_dwordx4 v[5:8], v[9:10], off
	global_load_dwordx4 v[105:108], v[9:10], off offset:512
	v_xor_b32_e32 v9, 16, v35
	v_cmp_gt_i32_e32 vcc_lo, 32, v9
	v_cndmask_b32_e32 v10, v35, v9, vcc_lo
	v_lshlrev_b32_e32 v10, 2, v10
	v_cvt_f32_f16_e32 v1, v1
	v_cvt_f32_f16_e32 v2, v2
	;; [unrolled: 1-line block ×4, first 2 shown]
	v_add_f32_e32 v14, v95, v1
	v_add_f32_e32 v15, v99, v2
	;; [unrolled: 1-line block ×26, first 2 shown]
	v_max3_f32 v1, v88, v1, v2
	v_add_f32_e32 v13, 0x40051340, v100
	v_add_f32_e32 v81, 0x40051340, v103
	v_add_f32_e32 v93, 0x40051340, v112
	v_add_f32_e32 v94, 0x40051340, v101
	v_add_f32_e32 v97, 0x40051340, v114
	v_add_f32_e32 v2, 0x40051340, v115
	v_max3_f32 v11, v91, v11, v12
	v_max3_f32 v12, v90, v82, v92
	;; [unrolled: 1-line block ×7, first 2 shown]
	ds_bpermute_b32 v11, v10, v1
	ds_bpermute_b32 v12, v10, v3
	;; [unrolled: 1-line block ×4, first 2 shown]
	v_xor_b32_e32 v10, 8, v35
	v_cmp_gt_i32_e32 vcc_lo, 32, v10
	v_cndmask_b32_e32 v82, v35, v10, vcc_lo
	s_waitcnt lgkmcnt(3)
	v_max_f32_e32 v11, v11, v11
	v_lshlrev_b32_e32 v82, 2, v82
	s_waitcnt lgkmcnt(2)
	v_max_f32_e32 v12, v12, v12
	s_waitcnt lgkmcnt(1)
	v_max_f32_e32 v13, v13, v13
	s_waitcnt lgkmcnt(0)
	v_max_f32_e32 v81, v81, v81
	v_max_f32_e32 v1, v1, v11
	v_xor_b32_e32 v11, 4, v35
	v_max_f32_e32 v3, v3, v12
	v_max_f32_e32 v4, v4, v13
	v_max_f32_e32 v2, v2, v81
	ds_bpermute_b32 v12, v82, v1
	v_cmp_gt_i32_e32 vcc_lo, 32, v11
	ds_bpermute_b32 v13, v82, v3
	ds_bpermute_b32 v81, v82, v4
	ds_bpermute_b32 v82, v82, v2
	v_cndmask_b32_e32 v92, v35, v11, vcc_lo
	v_lshlrev_b32_e32 v92, 2, v92
	s_waitcnt lgkmcnt(3)
	v_max_f32_e32 v12, v12, v12
	s_waitcnt lgkmcnt(2)
	v_max_f32_e32 v13, v13, v13
	s_waitcnt lgkmcnt(1)
	v_max_f32_e32 v81, v81, v81
	s_waitcnt lgkmcnt(0)
	v_max_f32_e32 v82, v82, v82
	v_max_f32_e32 v1, v1, v12
	v_xor_b32_e32 v12, 2, v35
	v_max_f32_e32 v3, v3, v13
	v_max_f32_e32 v4, v4, v81
	v_max_f32_e32 v2, v2, v82
	ds_bpermute_b32 v13, v92, v1
	v_cmp_gt_i32_e32 vcc_lo, 32, v12
	ds_bpermute_b32 v81, v92, v3
	ds_bpermute_b32 v82, v92, v4
	ds_bpermute_b32 v92, v92, v2
	v_cndmask_b32_e32 v93, v35, v12, vcc_lo
	v_lshlrev_b32_e32 v93, 2, v93
	s_waitcnt lgkmcnt(3)
	v_max_f32_e32 v13, v13, v13
	;; [unrolled: 20-line block ×3, first 2 shown]
	s_waitcnt lgkmcnt(2)
	v_max_f32_e32 v82, v82, v82
	s_waitcnt lgkmcnt(1)
	v_max_f32_e32 v92, v92, v92
	;; [unrolled: 2-line block ×3, first 2 shown]
	v_max_f32_e32 v116, v1, v81
	v_add_co_u32 v1, vcc_lo, s0, v29
	v_max_f32_e32 v3, v3, v82
	v_max_f32_e32 v117, v2, v93
	v_add_co_ci_u32_e64 v2, null, s15, v30, vcc_lo
	v_add_co_u32 v1, vcc_lo, v1, v87
	v_max_f32_e32 v4, v4, v92
	v_add_co_ci_u32_e64 v2, null, 0, v2, vcc_lo
	ds_bpermute_b32 v118, v94, v116
	ds_bpermute_b32 v119, v94, v3
	;; [unrolled: 1-line block ×4, first 2 shown]
	s_clause 0x1
	global_load_dwordx4 v[92:95], v[1:2], off
	global_load_dwordx4 v[96:99], v[1:2], off offset:512
	s_waitcnt vmcnt(3)
	ds_write_b128 v42, v[5:8]
	s_waitcnt vmcnt(2)
	ds_write_b128 v43, v[105:108]
	v_add_nc_u32_e32 v82, 0x9000, v33
	v_add_nc_u32_e32 v81, 0x9800, v33
	s_or_b32 s0, s8, 16
	s_mul_hi_i32 s19, s0, s9
	s_mul_i32 s18, s0, s9
	s_lshl_b64 s[18:19], s[18:19], 2
	s_add_u32 s0, s12, s18
	s_addc_u32 s15, s13, s19
	s_waitcnt lgkmcnt(5)
	v_max_f32_e32 v1, v118, v118
	s_waitcnt lgkmcnt(4)
	v_max_f32_e32 v2, v119, v119
	;; [unrolled: 2-line block ×4, first 2 shown]
	v_max_f32_e32 v1, v116, v1
	v_max_f32_e32 v2, v3, v2
	;; [unrolled: 1-line block ×4, first 2 shown]
	v_sub_f32_e32 v6, v14, v1
	v_sub_f32_e32 v7, v15, v1
	;; [unrolled: 1-line block ×5, first 2 shown]
	v_mul_f32_e32 v108, 0x3fb8aa3b, v6
	v_mul_f32_e32 v109, 0x3fb8aa3b, v7
	v_sub_f32_e32 v14, v102, v1
	v_sub_f32_e32 v102, v110, v3
	v_mul_f32_e32 v110, 0x3fb8aa3b, v8
	v_fma_f32 v129, 0x3fb8aa3b, v6, -v108
	v_rndne_f32_e32 v130, v108
	v_fma_f32 v131, 0x3fb8aa3b, v7, -v109
	v_rndne_f32_e32 v132, v109
	v_sub_f32_e32 v15, v91, v2
	v_fmac_f32_e32 v129, 0x32a5705f, v6
	v_sub_f32_e32 v108, v108, v130
	v_sub_f32_e32 v91, v100, v2
	;; [unrolled: 1-line block ×4, first 2 shown]
	v_mul_f32_e32 v111, 0x3fb8aa3b, v14
	v_fma_f32 v133, 0x3fb8aa3b, v8, -v110
	v_rndne_f32_e32 v134, v110
	v_fmac_f32_e32 v131, 0x32a5705f, v7
	v_sub_f32_e32 v109, v109, v132
	v_add_f32_e32 v108, v108, v129
	v_sub_f32_e32 v16, v104, v2
	v_sub_f32_e32 v104, v112, v3
	v_mul_f32_e32 v112, 0x3fb8aa3b, v5
	v_fma_f32 v135, 0x3fb8aa3b, v14, -v111
	v_rndne_f32_e32 v136, v111
	v_fmac_f32_e32 v133, 0x32a5705f, v8
	v_sub_f32_e32 v110, v110, v134
	v_add_f32_e32 v109, v109, v131
	v_exp_f32_e32 v108, v108
	v_sub_f32_e32 v105, v113, v4
	v_mul_f32_e32 v113, 0x3fb8aa3b, v16
	v_fma_f32 v137, 0x3fb8aa3b, v5, -v112
	v_rndne_f32_e32 v138, v112
	v_cvt_i32_f32_e32 v130, v130
	v_fmac_f32_e32 v135, 0x32a5705f, v14
	v_sub_f32_e32 v111, v111, v136
	v_add_f32_e32 v110, v110, v133
	v_exp_f32_e32 v109, v109
	v_sub_f32_e32 v106, v114, v4
	v_mul_f32_e32 v114, 0x3fb8aa3b, v88
	v_fma_f32 v139, 0x3fb8aa3b, v16, -v113
	v_rndne_f32_e32 v140, v113
	v_cvt_i32_f32_e32 v132, v132
	v_fmac_f32_e32 v137, 0x32a5705f, v5
	v_sub_f32_e32 v112, v112, v138
	v_add_f32_e32 v111, v111, v135
	v_exp_f32_e32 v110, v110
	v_ldexp_f32 v108, v108, v130
	v_cmp_ngt_f32_e32 vcc_lo, 0xc2ce8ed0, v6
	v_sub_f32_e32 v107, v115, v4
	v_mul_f32_e32 v115, 0x3fb8aa3b, v91
	v_fma_f32 v141, 0x3fb8aa3b, v88, -v114
	v_rndne_f32_e32 v142, v114
	v_cvt_i32_f32_e32 v134, v134
	v_fmac_f32_e32 v139, 0x32a5705f, v16
	v_sub_f32_e32 v113, v113, v140
	v_add_f32_e32 v112, v112, v137
	v_exp_f32_e32 v111, v111
	v_ldexp_f32 v109, v109, v132
	v_cndmask_b32_e32 v108, 0, v108, vcc_lo
	v_cmp_ngt_f32_e32 vcc_lo, 0xc2ce8ed0, v7
	v_mul_f32_e32 v116, 0x3fb8aa3b, v100
	v_fma_f32 v143, 0x3fb8aa3b, v91, -v115
	v_rndne_f32_e32 v144, v115
	v_cvt_i32_f32_e32 v136, v136
	v_fmac_f32_e32 v141, 0x32a5705f, v88
	v_sub_f32_e32 v114, v114, v142
	v_add_f32_e32 v113, v113, v139
	v_exp_f32_e32 v112, v112
	v_ldexp_f32 v110, v110, v134
	v_cndmask_b32_e32 v109, 0, v109, vcc_lo
	v_cmp_ngt_f32_e32 vcc_lo, 0xc2ce8ed0, v8
	;; [unrolled: 11-line block ×5, first 2 shown]
	v_sub_f32_e32 v101, v101, v3
	v_mul_f32_e32 v120, 0x3fb8aa3b, v104
	v_fma_f32 v151, 0x3fb8aa3b, v103, -v119
	v_rndne_f32_e32 v152, v119
	v_cvt_i32_f32_e32 v144, v144
	v_fmac_f32_e32 v149, 0x32a5705f, v102
	v_sub_f32_e32 v118, v118, v150
	v_add_f32_e32 v117, v117, v147
	v_exp_f32_e32 v116, v116
	v_ldexp_f32 v114, v114, v142
	v_cndmask_b32_e32 v113, 0, v113, vcc_lo
	v_cmp_ngt_f32_e32 vcc_lo, 0xc2ce8ed0, v88
	v_sub_f32_e32 v90, v90, v3
	v_mul_f32_e32 v121, 0x3fb8aa3b, v101
	v_fma_f32 v153, 0x3fb8aa3b, v104, -v120
	v_rndne_f32_e32 v154, v120
	v_cvt_i32_f32_e32 v146, v146
	v_fmac_f32_e32 v151, 0x32a5705f, v103
	v_sub_f32_e32 v119, v119, v152
	v_add_f32_e32 v118, v118, v149
	v_exp_f32_e32 v117, v117
	v_ldexp_f32 v115, v115, v144
	v_cndmask_b32_e32 v114, 0, v114, vcc_lo
	v_cmp_ngt_f32_e32 vcc_lo, 0xc2ce8ed0, v91
	v_sub_f32_e32 v73, v73, v4
	v_mul_f32_e32 v123, 0x3fb8aa3b, v90
	v_fma_f32 v155, 0x3fb8aa3b, v101, -v121
	v_rndne_f32_e32 v156, v121
	v_cvt_i32_f32_e32 v148, v148
	v_fmac_f32_e32 v153, 0x32a5705f, v104
	v_sub_f32_e32 v120, v120, v154
	v_add_f32_e32 v119, v119, v151
	v_exp_f32_e32 v118, v118
	v_ldexp_f32 v116, v116, v146
	v_cndmask_b32_e32 v115, 0, v115, vcc_lo
	v_cmp_ngt_f32_e32 vcc_lo, 0xc2ce8ed0, v100
	v_mul_f32_e32 v124, 0x3fb8aa3b, v73
	v_fma_f32 v157, 0x3fb8aa3b, v90, -v123
	v_rndne_f32_e32 v158, v123
	v_cvt_i32_f32_e32 v150, v150
	v_fmac_f32_e32 v155, 0x32a5705f, v101
	v_sub_f32_e32 v121, v121, v156
	v_add_f32_e32 v120, v120, v153
	v_exp_f32_e32 v119, v119
	v_ldexp_f32 v117, v117, v148
	v_cndmask_b32_e32 v116, 0, v116, vcc_lo
	v_cmp_ngt_f32_e32 vcc_lo, 0xc2ce8ed0, v15
	v_mul_f32_e32 v125, 0x3fb8aa3b, v105
	v_fma_f32 v159, 0x3fb8aa3b, v73, -v124
	v_rndne_f32_e32 v160, v124
	v_cvt_i32_f32_e32 v152, v152
	v_fmac_f32_e32 v157, 0x32a5705f, v90
	v_sub_f32_e32 v123, v123, v158
	v_add_f32_e32 v121, v121, v155
	v_exp_f32_e32 v120, v120
	v_ldexp_f32 v118, v118, v150
	v_cndmask_b32_e32 v117, 0, v117, vcc_lo
	v_cmp_ngt_f32_e32 vcc_lo, 0xc2ce8ed0, v102
	;; [unrolled: 11-line block ×3, first 2 shown]
	v_sub_f32_e32 v89, v89, v4
	v_mul_f32_e32 v127, 0x3fb8aa3b, v107
	v_fma_f32 v163, 0x3fb8aa3b, v106, -v126
	v_rndne_f32_e32 v164, v126
	v_cvt_i32_f32_e32 v156, v156
	v_fmac_f32_e32 v161, 0x32a5705f, v105
	v_sub_f32_e32 v125, v125, v162
	v_add_f32_e32 v124, v124, v159
	v_exp_f32_e32 v123, v123
	v_ldexp_f32 v120, v120, v154
	v_cndmask_b32_e32 v119, 0, v119, vcc_lo
	v_cmp_ngt_f32_e32 vcc_lo, 0xc2ce8ed0, v104
	v_mul_f32_e32 v128, 0x3fb8aa3b, v89
	v_fma_f32 v165, 0x3fb8aa3b, v107, -v127
	v_rndne_f32_e32 v166, v127
	v_cvt_i32_f32_e32 v158, v158
	v_fmac_f32_e32 v163, 0x32a5705f, v106
	v_sub_f32_e32 v126, v126, v164
	v_add_f32_e32 v125, v125, v161
	v_exp_f32_e32 v124, v124
	v_ldexp_f32 v121, v121, v156
	v_cndmask_b32_e32 v120, 0, v120, vcc_lo
	v_cmp_ngt_f32_e32 vcc_lo, 0xc2ce8ed0, v101
	v_fma_f32 v167, 0x3fb8aa3b, v89, -v128
	v_rndne_f32_e32 v168, v128
	v_cvt_i32_f32_e32 v160, v160
	v_fmac_f32_e32 v165, 0x32a5705f, v107
	v_sub_f32_e32 v127, v127, v166
	v_add_f32_e32 v126, v126, v163
	v_exp_f32_e32 v125, v125
	v_ldexp_f32 v123, v123, v158
	v_cndmask_b32_e32 v121, 0, v121, vcc_lo
	v_cmp_ngt_f32_e32 vcc_lo, 0xc2ce8ed0, v90
	v_cvt_i32_f32_e32 v162, v162
	v_fmac_f32_e32 v167, 0x32a5705f, v89
	v_sub_f32_e32 v128, v128, v168
	v_add_f32_e32 v127, v127, v165
	v_exp_f32_e32 v126, v126
	v_ldexp_f32 v124, v124, v160
	v_cndmask_b32_e32 v123, 0, v123, vcc_lo
	v_cmp_ngt_f32_e32 vcc_lo, 0xc2ce8ed0, v73
	v_cvt_i32_f32_e32 v164, v164
	v_add_f32_e32 v128, v128, v167
	v_exp_f32_e32 v127, v127
	v_ldexp_f32 v125, v125, v162
	v_cndmask_b32_e32 v124, 0, v124, vcc_lo
	v_cmp_ngt_f32_e32 vcc_lo, 0xc2ce8ed0, v105
	v_cvt_i32_f32_e32 v166, v166
	v_exp_f32_e32 v128, v128
	v_ldexp_f32 v126, v126, v164
	v_cvt_i32_f32_e32 v168, v168
	v_cndmask_b32_e32 v125, 0, v125, vcc_lo
	v_cmp_ngt_f32_e32 vcc_lo, 0xc2ce8ed0, v106
	v_ldexp_f32 v127, v127, v166
	v_cndmask_b32_e32 v126, 0, v126, vcc_lo
	v_cmp_ngt_f32_e32 vcc_lo, 0xc2ce8ed0, v107
	v_ldexp_f32 v128, v128, v168
	v_cndmask_b32_e32 v127, 0, v127, vcc_lo
	v_cmp_ngt_f32_e32 vcc_lo, 0xc2ce8ed0, v89
	v_cndmask_b32_e32 v128, 0, v128, vcc_lo
	v_cmp_nlt_f32_e32 vcc_lo, 0x42b17218, v6
	v_cndmask_b32_e32 v6, 0x7f800000, v108, vcc_lo
	v_cmp_nlt_f32_e32 vcc_lo, 0x42b17218, v7
	;; [unrolled: 2-line block ×5, first 2 shown]
	v_cvt_f16_f32_e32 v110, v14
	v_cndmask_b32_e32 v108, 0x7f800000, v112, vcc_lo
	v_cmp_nlt_f32_e32 vcc_lo, 0x42b17218, v16
	v_cvt_f16_f32_e32 v111, v108
	v_cndmask_b32_e32 v5, 0x7f800000, v113, vcc_lo
	v_cmp_nlt_f32_e32 vcc_lo, 0x42b17218, v88
	v_mul_u32_u24_sdwa v111, v111, v47 dst_sel:DWORD dst_unused:UNUSED_PAD src0_sel:WORD_0 src1_sel:DWORD
	v_cvt_f16_f32_e32 v112, v5
	v_cndmask_b32_e32 v16, 0x7f800000, v114, vcc_lo
	v_cmp_nlt_f32_e32 vcc_lo, 0x42b17218, v91
	v_pk_mul_f16 v79, v79, v111
	v_pk_mul_f16 v80, v80, v111
	v_add_f32_e32 v5, v5, v16
	v_cndmask_b32_e32 v88, 0x7f800000, v115, vcc_lo
	v_cmp_nlt_f32_e32 vcc_lo, 0x42b17218, v100
	v_cvt_f16_f32_e32 v16, v16
	v_pk_mul_f16 v78, v78, v111
	v_cvt_f16_f32_e32 v113, v88
	v_cndmask_b32_e32 v100, 0x7f800000, v116, vcc_lo
	v_cmp_nlt_f32_e32 vcc_lo, 0x42b17218, v15
	v_cvt_f16_f32_e32 v114, v100
	v_cndmask_b32_e32 v109, 0x7f800000, v117, vcc_lo
	v_cmp_nlt_f32_e32 vcc_lo, 0x42b17218, v102
	v_cvt_f16_f32_e32 v115, v109
	v_cndmask_b32_e32 v15, 0x7f800000, v118, vcc_lo
	v_cmp_nlt_f32_e32 vcc_lo, 0x42b17218, v103
	v_mul_u32_u24_sdwa v115, v115, v47 dst_sel:DWORD dst_unused:UNUSED_PAD src0_sel:WORD_0 src1_sel:DWORD
	v_cvt_f16_f32_e32 v116, v15
	v_cndmask_b32_e32 v91, 0x7f800000, v119, vcc_lo
	v_cmp_nlt_f32_e32 vcc_lo, 0x42b17218, v104
	v_pk_mul_f16 v71, v71, v115
	v_pk_mul_f16 v70, v70, v115
	v_add_f32_e32 v15, v15, v91
	v_cndmask_b32_e32 v102, 0x7f800000, v120, vcc_lo
	v_cmp_nlt_f32_e32 vcc_lo, 0x42b17218, v101
	v_cvt_f16_f32_e32 v91, v91
	v_pk_mul_f16 v69, v69, v115
	v_cvt_f16_f32_e32 v117, v102
	v_cndmask_b32_e32 v101, 0x7f800000, v121, vcc_lo
	v_cmp_nlt_f32_e32 vcc_lo, 0x42b17218, v90
	v_add_f32_e32 v102, v102, v15
	v_cvt_f16_f32_e32 v118, v101
	v_cndmask_b32_e32 v103, 0x7f800000, v123, vcc_lo
	v_cmp_nlt_f32_e32 vcc_lo, 0x42b17218, v73
	v_cvt_f16_f32_e32 v119, v103
	v_cndmask_b32_e32 v73, 0x7f800000, v124, vcc_lo
	v_cmp_nlt_f32_e32 vcc_lo, 0x42b17218, v105
	v_mul_u32_u24_sdwa v119, v119, v47 dst_sel:DWORD dst_unused:UNUSED_PAD src0_sel:WORD_0 src1_sel:DWORD
	v_cvt_f16_f32_e32 v120, v73
	v_cndmask_b32_e32 v90, 0x7f800000, v125, vcc_lo
	v_cmp_nlt_f32_e32 vcc_lo, 0x42b17218, v106
	v_pk_mul_f16 v63, v63, v119
	v_pk_mul_f16 v62, v62, v119
	v_add_f32_e32 v73, v73, v90
	v_cndmask_b32_e32 v104, 0x7f800000, v126, vcc_lo
	v_cmp_nlt_f32_e32 vcc_lo, 0x42b17218, v107
	v_cvt_f16_f32_e32 v90, v90
	v_cvt_f16_f32_e32 v107, v8
	v_add_f32_e32 v126, v88, v5
	v_cvt_f16_f32_e32 v121, v104
	v_cndmask_b32_e32 v105, 0x7f800000, v127, vcc_lo
	v_cmp_nlt_f32_e32 vcc_lo, 0x42b17218, v89
	v_cvt_f16_f32_e32 v89, v6
	v_add_f32_e32 v6, v6, v7
	v_cvt_f16_f32_e32 v7, v7
	v_cvt_f16_f32_e32 v123, v105
	v_pack_b32_f16 v88, v107, v113
	v_pack_b32_f16 v5, v89, v112
	v_add_f32_e32 v125, v8, v6
	v_pack_b32_f16 v6, v116, v120
	v_pack_b32_f16 v8, v91, v90
	;; [unrolled: 1-line block ×6, first 2 shown]
	v_cndmask_b32_e32 v106, 0x7f800000, v128, vcc_lo
	v_add_f32_e32 v104, v104, v73
	v_add_f32_e32 v73, v101, v102
	v_pk_mul_f16 v101, v59, v119
	v_pk_mul_f16 v102, v60, v119
	;; [unrolled: 1-line block ×4, first 2 shown]
	ds_write2_b64 v122, v[5:6], v[7:8] offset1:32
	ds_write2_b64 v122, v[88:89], v[90:91] offset0:64 offset1:96
	s_waitcnt vmcnt(1)
	ds_write_b128 v44, v[92:95]
	s_waitcnt vmcnt(0)
	ds_write_b128 v45, v[96:99]
	s_waitcnt lgkmcnt(0)
	s_barrier
	buffer_gl0_inv
	ds_read_b128 v[57:60], v41
	v_cvt_f16_f32_e32 v124, v106
	v_add_f32_e32 v14, v14, v125
	v_pk_mul_f16 v107, v76, v111
	v_pk_mul_f16 v110, v77, v111
	;; [unrolled: 1-line block ×3, first 2 shown]
	v_mul_u32_u24_sdwa v124, v124, v47 dst_sel:DWORD dst_unused:UNUSED_PAD src0_sel:WORD_0 src1_sel:DWORD
	v_pk_mul_f16 v113, v75, v111
	v_add_f32_e32 v15, v100, v126
	v_pk_mul_f16 v100, v67, v115
	v_pk_mul_f16 v114, v68, v115
	;; [unrolled: 1-line block ×4, first 2 shown]
	v_add_f32_e32 v16, v105, v104
	v_pk_mul_f16 v104, v55, v124
	v_pk_mul_f16 v105, v54, v124
	v_pk_mul_f16 v121, v50, v124
	v_pk_mul_f16 v122, v53, v124
	v_pk_mul_f16 v123, v51, v124
	v_pk_mul_f16 v125, v52, v124
	v_pk_mul_f16 v126, v49, v124
	v_pk_mul_f16 v124, v48, v124
	ds_read2_b64 v[48:51], v82 offset1:32
	ds_read2_b64 v[52:55], v82 offset0:64 offset1:96
	ds_read_b128 v[65:68], v41 offset:16
	ds_read_b128 v[74:77], v41 offset:32
	;; [unrolled: 1-line block ×3, first 2 shown]
	ds_read2_b64 v[88:91], v82 offset0:128 offset1:160
	ds_read2_b64 v[92:95], v82 offset0:192 offset1:224
	ds_read2_b64 v[96:99], v81 offset1:32
	v_fmac_f32_e32 v14, v83, v108
	v_fmac_f32_e32 v15, v84, v109
	s_waitcnt lgkmcnt(8)
	v_mul_u32_u24_sdwa v83, v57, v47 dst_sel:DWORD dst_unused:UNUSED_PAD src0_sel:WORD_0 src1_sel:DWORD
	v_mul_u32_u24_sdwa v57, v57, v47 dst_sel:DWORD dst_unused:UNUSED_PAD src0_sel:WORD_1 src1_sel:DWORD
	v_mul_u32_u24_sdwa v84, v58, v47 dst_sel:DWORD dst_unused:UNUSED_PAD src0_sel:WORD_0 src1_sel:DWORD
	v_mul_u32_u24_sdwa v58, v58, v47 dst_sel:DWORD dst_unused:UNUSED_PAD src0_sel:WORD_1 src1_sel:DWORD
	v_pk_mul_f16 v61, v61, v119
	v_fmac_f32_e32 v73, v85, v103
	v_fmac_f32_e32 v16, v86, v106
	v_mul_u32_u24_sdwa v85, v59, v47 dst_sel:DWORD dst_unused:UNUSED_PAD src0_sel:WORD_0 src1_sel:DWORD
	v_mul_u32_u24_sdwa v59, v59, v47 dst_sel:DWORD dst_unused:UNUSED_PAD src0_sel:WORD_1 src1_sel:DWORD
	v_mul_u32_u24_sdwa v86, v60, v47 dst_sel:DWORD dst_unused:UNUSED_PAD src0_sel:WORD_0 src1_sel:DWORD
	v_mul_u32_u24_sdwa v60, v60, v47 dst_sel:DWORD dst_unused:UNUSED_PAD src0_sel:WORD_1 src1_sel:DWORD
	s_waitcnt lgkmcnt(7)
	v_pk_mul_f16 v103, v48, v83
	v_pk_mul_f16 v106, v48, v57
	;; [unrolled: 1-line block ×3, first 2 shown]
	v_pk_fma_f16 v48, v48, v58, v104
	v_pk_fma_f16 v79, v49, v83, v79
	;; [unrolled: 1-line block ×13, first 2 shown]
	s_waitcnt lgkmcnt(6)
	v_pk_fma_f16 v105, v52, v83, v110
	v_pk_fma_f16 v107, v52, v57, v114
	;; [unrolled: 1-line block ×17, first 2 shown]
	s_waitcnt lgkmcnt(2)
	v_pk_fma_f16 v72, v88, v60, v48
	v_pk_fma_f16 v79, v89, v85, v79
	;; [unrolled: 1-line block ×13, first 2 shown]
	ds_read2_b64 v[48:51], v81 offset0:64 offset1:96
	v_pk_fma_f16 v64, v64, v115, v106
	v_pk_fma_f16 v56, v56, v119, v108
	s_waitcnt lgkmcnt(2)
	v_pk_fma_f16 v104, v92, v85, v105
	v_pk_fma_f16 v105, v92, v59, v107
	;; [unrolled: 1-line block ×11, first 2 shown]
	v_mul_u32_u24_sdwa v83, v65, v47 dst_sel:DWORD dst_unused:UNUSED_PAD src0_sel:WORD_0 src1_sel:DWORD
	v_mul_u32_u24_sdwa v65, v65, v47 dst_sel:DWORD dst_unused:UNUSED_PAD src0_sel:WORD_1 src1_sel:DWORD
	v_pk_fma_f16 v106, v94, v85, v109
	v_pk_fma_f16 v107, v94, v59, v110
	;; [unrolled: 1-line block ×7, first 2 shown]
	v_mul_u32_u24_sdwa v84, v66, v47 dst_sel:DWORD dst_unused:UNUSED_PAD src0_sel:WORD_0 src1_sel:DWORD
	v_mul_u32_u24_sdwa v66, v66, v47 dst_sel:DWORD dst_unused:UNUSED_PAD src0_sel:WORD_1 src1_sel:DWORD
	v_pk_fma_f16 v60, v95, v60, v55
	s_waitcnt lgkmcnt(1)
	v_pk_fma_f16 v85, v96, v83, v52
	v_pk_fma_f16 v86, v96, v65, v53
	ds_read2_b64 v[52:55], v81 offset0:128 offset1:160
	v_pk_fma_f16 v88, v96, v84, v56
	v_pk_fma_f16 v72, v96, v66, v72
	;; [unrolled: 1-line block ×12, first 2 shown]
	s_waitcnt lgkmcnt(1)
	v_pk_fma_f16 v97, v48, v83, v104
	v_pk_fma_f16 v98, v48, v65, v105
	;; [unrolled: 1-line block ×10, first 2 shown]
	ds_read2_b64 v[56:59], v81 offset0:192 offset1:224
	v_pk_fma_f16 v62, v99, v84, v62
	v_pk_fma_f16 v91, v99, v66, v91
	;; [unrolled: 1-line block ×5, first 2 shown]
	v_mul_u32_u24_sdwa v84, v67, v47 dst_sel:DWORD dst_unused:UNUSED_PAD src0_sel:WORD_0 src1_sel:DWORD
	v_mul_u32_u24_sdwa v67, v67, v47 dst_sel:DWORD dst_unused:UNUSED_PAD src0_sel:WORD_1 src1_sel:DWORD
	v_mul_u32_u24_sdwa v104, v68, v47 dst_sel:DWORD dst_unused:UNUSED_PAD src0_sel:WORD_0 src1_sel:DWORD
	v_mul_u32_u24_sdwa v68, v68, v47 dst_sel:DWORD dst_unused:UNUSED_PAD src0_sel:WORD_1 src1_sel:DWORD
	v_pk_fma_f16 v92, v48, v66, v92
	v_pk_fma_f16 v93, v49, v66, v93
	;; [unrolled: 1-line block ×3, first 2 shown]
	s_waitcnt lgkmcnt(1)
	v_pk_fma_f16 v66, v52, v84, v85
	v_pk_fma_f16 v85, v52, v67, v86
	;; [unrolled: 1-line block ×4, first 2 shown]
	v_add_nc_u32_e32 v52, 0xa000, v33
	v_pk_fma_f16 v79, v53, v84, v79
	v_pk_fma_f16 v71, v53, v67, v71
	;; [unrolled: 1-line block ×12, first 2 shown]
	s_waitcnt lgkmcnt(0)
	v_pk_fma_f16 v96, v56, v84, v97
	v_pk_fma_f16 v97, v56, v67, v98
	ds_read2_b64 v[48:51], v52 offset1:32
	v_pk_fma_f16 v98, v56, v104, v99
	v_pk_fma_f16 v92, v56, v68, v92
	ds_read2_b64 v[53:56], v52 offset0:64 offset1:96
	v_pk_fma_f16 v78, v57, v84, v78
	v_pk_fma_f16 v69, v57, v67, v69
	;; [unrolled: 1-line block ×11, first 2 shown]
	v_mul_u32_u24_sdwa v83, v74, v47 dst_sel:DWORD dst_unused:UNUSED_PAD src0_sel:WORD_0 src1_sel:DWORD
	v_mul_u32_u24_sdwa v74, v74, v47 dst_sel:DWORD dst_unused:UNUSED_PAD src0_sel:WORD_1 src1_sel:DWORD
	v_mul_u32_u24_sdwa v84, v75, v47 dst_sel:DWORD dst_unused:UNUSED_PAD src0_sel:WORD_0 src1_sel:DWORD
	v_mul_u32_u24_sdwa v75, v75, v47 dst_sel:DWORD dst_unused:UNUSED_PAD src0_sel:WORD_1 src1_sel:DWORD
	v_pk_fma_f16 v68, v59, v68, v60
	s_waitcnt lgkmcnt(1)
	v_pk_fma_f16 v66, v48, v83, v66
	v_pk_fma_f16 v85, v48, v74, v85
	;; [unrolled: 1-line block ×16, first 2 shown]
	ds_read2_b64 v[48:51], v52 offset0:128 offset1:160
	s_waitcnt lgkmcnt(1)
	v_pk_fma_f16 v78, v54, v83, v78
	v_pk_fma_f16 v69, v54, v74, v69
	;; [unrolled: 1-line block ×8, first 2 shown]
	ds_read2_b64 v[57:60], v52 offset0:192 offset1:224
	v_pk_fma_f16 v96, v53, v83, v96
	v_pk_fma_f16 v97, v53, v74, v97
	v_pk_fma_f16 v98, v53, v84, v98
	v_pk_fma_f16 v92, v53, v75, v92
	v_pk_fma_f16 v64, v56, v83, v64
	v_pk_fma_f16 v65, v56, v74, v65
	v_mul_u32_u24_sdwa v74, v76, v47 dst_sel:DWORD dst_unused:UNUSED_PAD src0_sel:WORD_0 src1_sel:DWORD
	v_mul_u32_u24_sdwa v76, v76, v47 dst_sel:DWORD dst_unused:UNUSED_PAD src0_sel:WORD_1 src1_sel:DWORD
	v_mul_u32_u24_sdwa v83, v77, v47 dst_sel:DWORD dst_unused:UNUSED_PAD src0_sel:WORD_0 src1_sel:DWORD
	v_mul_u32_u24_sdwa v77, v77, v47 dst_sel:DWORD dst_unused:UNUSED_PAD src0_sel:WORD_1 src1_sel:DWORD
	v_add_nc_u32_e32 v53, 0xa800, v33
	v_pk_fma_f16 v67, v56, v84, v67
	v_pk_fma_f16 v68, v56, v75, v68
	s_waitcnt lgkmcnt(1)
	v_pk_fma_f16 v75, v48, v76, v85
	v_pk_fma_f16 v84, v48, v83, v86
	;; [unrolled: 1-line block ×6, first 2 shown]
	s_waitcnt lgkmcnt(0)
	v_pk_fma_f16 v94, v57, v74, v96
	v_pk_fma_f16 v95, v57, v76, v97
	v_pk_fma_f16 v96, v57, v83, v98
	v_pk_fma_f16 v92, v57, v77, v92
	v_pk_fma_f16 v78, v58, v74, v78
	v_pk_fma_f16 v69, v58, v76, v69
	v_pk_fma_f16 v61, v58, v83, v61
	v_pk_fma_f16 v58, v58, v77, v54
	v_pk_fma_f16 v175, v59, v77, v55
	ds_read2_b64 v[54:57], v53 offset0:64 offset1:96
	v_pk_fma_f16 v66, v48, v74, v66
	v_pk_fma_f16 v72, v48, v77, v72
	;; [unrolled: 1-line block ×10, first 2 shown]
	ds_read2_b64 v[48:51], v53 offset1:32
	v_mul_u32_u24_sdwa v179, v5, v47 dst_sel:DWORD dst_unused:UNUSED_PAD src0_sel:WORD_0 src1_sel:DWORD
	v_mul_u32_u24_sdwa v180, v5, v47 dst_sel:DWORD dst_unused:UNUSED_PAD src0_sel:WORD_1 src1_sel:DWORD
	v_mul_u32_u24_sdwa v181, v6, v47 dst_sel:DWORD dst_unused:UNUSED_PAD src0_sel:WORD_0 src1_sel:DWORD
	v_mul_u32_u24_sdwa v182, v6, v47 dst_sel:DWORD dst_unused:UNUSED_PAD src0_sel:WORD_1 src1_sel:DWORD
	v_add_co_u32 v5, vcc_lo, s0, v27
	v_add_co_ci_u32_e64 v6, null, s15, v28, vcc_lo
	s_waitcnt lgkmcnt(1)
	v_pk_fma_f16 v195, v54, v179, v94
	v_pk_fma_f16 v196, v54, v180, v95
	;; [unrolled: 1-line block ×4, first 2 shown]
	v_add_co_u32 v54, vcc_lo, s0, v29
	v_pk_fma_f16 v78, v55, v179, v78
	v_pk_fma_f16 v199, v55, v180, v69
	;; [unrolled: 1-line block ×4, first 2 shown]
	v_add_co_ci_u32_e64 v55, null, s15, v30, vcc_lo
	v_add_co_u32 v5, vcc_lo, v5, v87
	s_waitcnt lgkmcnt(0)
	v_pk_fma_f16 v184, v48, v179, v66
	v_pk_fma_f16 v185, v48, v180, v75
	;; [unrolled: 1-line block ×12, first 2 shown]
	v_add_nc_u32_e32 v51, 0xb000, v33
	v_add_nc_u32_e32 v49, 0xc000, v33
	v_add_nc_u32_e32 v48, 0xc800, v33
	v_add_co_ci_u32_e64 v6, null, 0, v6, vcc_lo
	v_add_co_u32 v54, vcc_lo, v54, v87
	v_pk_fma_f16 v189, v50, v179, v86
	v_pk_fma_f16 v190, v50, v180, v88
	;; [unrolled: 1-line block ×4, first 2 shown]
	v_add_nc_u32_e32 v50, 0xb800, v33
	v_add_co_ci_u32_e64 v55, null, 0, v55, vcc_lo
	v_pk_fma_f16 v172, v59, v74, v93
	v_pk_fma_f16 v173, v59, v76, v99
	;; [unrolled: 1-line block ×7, first 2 shown]
	ds_read2_b64 v[58:61], v53 offset0:128 offset1:160
	ds_read2_b64 v[62:65], v53 offset0:192 offset1:224
	ds_read2_b64 v[66:69], v51 offset1:32
	ds_read2_b64 v[74:77], v51 offset0:64 offset1:96
	ds_read2_b64 v[83:86], v51 offset0:128 offset1:160
	;; [unrolled: 1-line block ×3, first 2 shown]
	ds_read2_b64 v[92:95], v50 offset1:32
	ds_read2_b64 v[96:99], v50 offset0:64 offset1:96
	ds_read_b128 v[100:103], v41 offset:64
	ds_read_b128 v[104:107], v41 offset:80
	ds_read2_b64 v[108:111], v50 offset0:128 offset1:160
	ds_read2_b64 v[112:115], v50 offset0:192 offset1:224
	ds_read2_b64 v[116:119], v49 offset1:32
	ds_read2_b64 v[120:123], v49 offset0:64 offset1:96
	ds_read2_b64 v[124:127], v49 offset0:128 offset1:160
	ds_read2_b64 v[128:131], v49 offset0:192 offset1:224
	ds_read2_b64 v[132:135], v48 offset1:32
	ds_read2_b64 v[136:139], v48 offset0:64 offset1:96
	ds_read_b128 v[140:143], v41 offset:96
	ds_read_b128 v[144:147], v41 offset:112
	ds_read2_b64 v[148:151], v48 offset0:128 offset1:160
	ds_read2_b64 v[152:155], v48 offset0:192 offset1:224
	s_waitcnt lgkmcnt(0)
	s_barrier
	buffer_gl0_inv
	s_clause 0x3
	global_load_dwordx4 v[156:159], v[5:6], off
	global_load_dwordx4 v[160:163], v[5:6], off offset:512
	global_load_dwordx4 v[164:167], v[54:55], off
	global_load_dwordx4 v[168:171], v[54:55], off offset:512
	v_pk_fma_f16 v5, v56, v179, v172
	v_pk_fma_f16 v6, v56, v180, v173
	;; [unrolled: 1-line block ×7, first 2 shown]
	v_mul_u32_u24_sdwa v174, v7, v47 dst_sel:DWORD dst_unused:UNUSED_PAD src0_sel:WORD_0 src1_sel:DWORD
	v_mul_u32_u24_sdwa v7, v7, v47 dst_sel:DWORD dst_unused:UNUSED_PAD src0_sel:WORD_1 src1_sel:DWORD
	v_mul_u32_u24_sdwa v175, v8, v47 dst_sel:DWORD dst_unused:UNUSED_PAD src0_sel:WORD_0 src1_sel:DWORD
	v_mul_u32_u24_sdwa v8, v8, v47 dst_sel:DWORD dst_unused:UNUSED_PAD src0_sel:WORD_1 src1_sel:DWORD
	v_pk_fma_f16 v57, v57, v182, v183
	v_pk_fma_f16 v176, v58, v174, v184
	;; [unrolled: 1-line block ×32, first 2 shown]
	v_mul_u32_u24_sdwa v172, v100, v47 dst_sel:DWORD dst_unused:UNUSED_PAD src0_sel:WORD_0 src1_sel:DWORD
	v_mul_u32_u24_sdwa v100, v100, v47 dst_sel:DWORD dst_unused:UNUSED_PAD src0_sel:WORD_1 src1_sel:DWORD
	v_mul_u32_u24_sdwa v173, v101, v47 dst_sel:DWORD dst_unused:UNUSED_PAD src0_sel:WORD_0 src1_sel:DWORD
	v_mul_u32_u24_sdwa v101, v101, v47 dst_sel:DWORD dst_unused:UNUSED_PAD src0_sel:WORD_1 src1_sel:DWORD
	v_pk_fma_f16 v8, v65, v8, v57
	v_pk_fma_f16 v57, v66, v172, v176
	;; [unrolled: 1-line block ×31, first 2 shown]
	v_mul_u32_u24_sdwa v75, v102, v47 dst_sel:DWORD dst_unused:UNUSED_PAD src0_sel:WORD_0 src1_sel:DWORD
	v_mul_u32_u24_sdwa v76, v102, v47 dst_sel:DWORD dst_unused:UNUSED_PAD src0_sel:WORD_1 src1_sel:DWORD
	v_mul_u32_u24_sdwa v100, v103, v47 dst_sel:DWORD dst_unused:UNUSED_PAD src0_sel:WORD_0 src1_sel:DWORD
	v_mul_u32_u24_sdwa v102, v103, v47 dst_sel:DWORD dst_unused:UNUSED_PAD src0_sel:WORD_1 src1_sel:DWORD
	v_pk_fma_f16 v64, v77, v173, v64
	v_pk_fma_f16 v8, v77, v101, v8
	;; [unrolled: 1-line block ×20, first 2 shown]
	v_mul_u32_u24_sdwa v75, v104, v47 dst_sel:DWORD dst_unused:UNUSED_PAD src0_sel:WORD_0 src1_sel:DWORD
	v_mul_u32_u24_sdwa v76, v104, v47 dst_sel:DWORD dst_unused:UNUSED_PAD src0_sel:WORD_1 src1_sel:DWORD
	v_pk_fma_f16 v77, v83, v100, v174
	v_pk_fma_f16 v58, v83, v102, v58
	v_pk_fma_f16 v83, v85, v100, v175
	v_pk_fma_f16 v60, v85, v102, v60
	v_pk_fma_f16 v80, v86, v100, v80
	v_pk_fma_f16 v61, v86, v102, v61
	v_pk_fma_f16 v85, v88, v100, v177
	v_pk_fma_f16 v62, v88, v102, v62
	v_pk_fma_f16 v86, v89, v100, v178
	v_pk_fma_f16 v63, v89, v102, v63
	v_pk_fma_f16 v54, v90, v100, v54
	v_pk_fma_f16 v55, v90, v102, v55
	v_pk_fma_f16 v64, v91, v100, v64
	v_mul_u32_u24_sdwa v88, v105, v47 dst_sel:DWORD dst_unused:UNUSED_PAD src0_sel:WORD_0 src1_sel:DWORD
	v_mul_u32_u24_sdwa v89, v105, v47 dst_sel:DWORD dst_unused:UNUSED_PAD src0_sel:WORD_1 src1_sel:DWORD
	v_pk_fma_f16 v8, v91, v102, v8
	v_pk_fma_f16 v57, v92, v75, v57
	v_pk_fma_f16 v65, v92, v76, v65
	v_pk_fma_f16 v66, v93, v75, v66
	v_pk_fma_f16 v71, v93, v76, v71
	v_pk_fma_f16 v67, v94, v75, v67
	v_pk_fma_f16 v79, v94, v76, v79
	v_pk_fma_f16 v68, v95, v75, v68
	v_pk_fma_f16 v70, v95, v76, v70
	v_pk_fma_f16 v69, v96, v75, v69
	v_pk_fma_f16 v84, v96, v76, v84
	v_pk_fma_f16 v74, v97, v75, v74
	v_pk_fma_f16 v78, v97, v76, v78
	v_pk_fma_f16 v5, v98, v75, v5
	v_pk_fma_f16 v6, v98, v76, v6
	v_pk_fma_f16 v56, v99, v75, v56
	v_pk_fma_f16 v7, v99, v76, v7
	v_mul_u32_u24_sdwa v75, v106, v47 dst_sel:DWORD dst_unused:UNUSED_PAD src0_sel:WORD_0 src1_sel:DWORD
	v_mul_u32_u24_sdwa v76, v106, v47 dst_sel:DWORD dst_unused:UNUSED_PAD src0_sel:WORD_1 src1_sel:DWORD
	v_pk_fma_f16 v77, v92, v88, v77
	v_pk_fma_f16 v58, v92, v89, v58
	v_pk_fma_f16 v72, v93, v88, v72
	v_pk_fma_f16 v59, v93, v89, v59
	v_pk_fma_f16 v83, v94, v88, v83
	v_pk_fma_f16 v60, v94, v89, v60
	v_pk_fma_f16 v80, v95, v88, v80
	v_pk_fma_f16 v61, v95, v89, v61
	v_pk_fma_f16 v85, v96, v88, v85
	v_pk_fma_f16 v62, v96, v89, v62
	v_pk_fma_f16 v86, v97, v88, v86
	v_pk_fma_f16 v63, v97, v89, v63
	v_pk_fma_f16 v54, v98, v88, v54
	v_pk_fma_f16 v55, v98, v89, v55
	v_pk_fma_f16 v64, v99, v88, v64
	v_mul_u32_u24_sdwa v88, v107, v47 dst_sel:DWORD dst_unused:UNUSED_PAD src0_sel:WORD_0 src1_sel:DWORD
	v_mul_u32_u24_sdwa v90, v107, v47 dst_sel:DWORD dst_unused:UNUSED_PAD src0_sel:WORD_1 src1_sel:DWORD
	v_pk_fma_f16 v8, v99, v89, v8
	v_pk_fma_f16 v57, v108, v75, v57
	v_pk_fma_f16 v65, v108, v76, v65
	v_pk_fma_f16 v66, v109, v75, v66
	v_pk_fma_f16 v71, v109, v76, v71
	v_pk_fma_f16 v67, v110, v75, v67
	v_pk_fma_f16 v79, v110, v76, v79
	v_pk_fma_f16 v68, v111, v75, v68
	v_pk_fma_f16 v70, v111, v76, v70
	v_pk_fma_f16 v69, v112, v75, v69
	v_pk_fma_f16 v84, v112, v76, v84
	v_pk_fma_f16 v74, v113, v75, v74
	v_pk_fma_f16 v78, v113, v76, v78
	v_pk_fma_f16 v5, v114, v75, v5
	v_pk_fma_f16 v6, v114, v76, v6
	v_pk_fma_f16 v56, v115, v75, v56
	v_pk_fma_f16 v7, v115, v76, v7
	v_mul_u32_u24_sdwa v75, v140, v47 dst_sel:DWORD dst_unused:UNUSED_PAD src0_sel:WORD_0 src1_sel:DWORD
	v_mul_u32_u24_sdwa v76, v140, v47 dst_sel:DWORD dst_unused:UNUSED_PAD src0_sel:WORD_1 src1_sel:DWORD
	v_pk_fma_f16 v77, v108, v88, v77
	v_pk_fma_f16 v58, v108, v90, v58
	;; [unrolled: 36-line block ×4, first 2 shown]
	v_pk_fma_f16 v72, v125, v88, v72
	v_pk_fma_f16 v59, v125, v90, v59
	;; [unrolled: 1-line block ×13, first 2 shown]
	v_mul_u32_u24_sdwa v88, v145, v47 dst_sel:DWORD dst_unused:UNUSED_PAD src0_sel:WORD_0 src1_sel:DWORD
	v_mul_u32_u24_sdwa v89, v145, v47 dst_sel:DWORD dst_unused:UNUSED_PAD src0_sel:WORD_1 src1_sel:DWORD
	v_pk_fma_f16 v8, v131, v90, v8
	v_pk_fma_f16 v57, v132, v75, v57
	;; [unrolled: 1-line block ×10, first 2 shown]
	v_mul_u32_u24_sdwa v76, v146, v47 dst_sel:DWORD dst_unused:UNUSED_PAD src0_sel:WORD_0 src1_sel:DWORD
	v_pk_fma_f16 v58, v132, v89, v58
	v_pk_fma_f16 v66, v133, v75, v66
	;; [unrolled: 1-line block ×15, first 2 shown]
	v_mul_u32_u24_sdwa v93, v147, v47 dst_sel:DWORD dst_unused:UNUSED_PAD src0_sel:WORD_1 src1_sel:DWORD
	v_pk_fma_f16 v8, v139, v89, v8
	v_pk_fma_f16 v89, v148, v76, v57
	s_waitcnt vmcnt(3)
	ds_write_b128 v42, v[156:159]
	s_waitcnt vmcnt(2)
	ds_write_b128 v43, v[160:163]
	;; [unrolled: 2-line block ×4, first 2 shown]
	s_waitcnt lgkmcnt(0)
	s_barrier
	buffer_gl0_inv
	ds_read_b128 v[54:57], v41 offset:128
	v_pk_fma_f16 v96, v148, v93, v58
	v_pk_fma_f16 v98, v149, v93, v59
	;; [unrolled: 1-line block ×4, first 2 shown]
	ds_read2_b64 v[58:61], v82 offset1:32
	v_pk_fma_f16 v77, v132, v88, v77
	v_pk_fma_f16 v72, v133, v88, v72
	;; [unrolled: 1-line block ×7, first 2 shown]
	v_mul_u32_u24_sdwa v88, v146, v47 dst_sel:DWORD dst_unused:UNUSED_PAD src0_sel:WORD_1 src1_sel:DWORD
	v_mul_u32_u24_sdwa v92, v147, v47 dst_sel:DWORD dst_unused:UNUSED_PAD src0_sel:WORD_0 src1_sel:DWORD
	v_pk_fma_f16 v97, v149, v76, v66
	v_pk_fma_f16 v99, v150, v76, v67
	;; [unrolled: 1-line block ×11, first 2 shown]
	s_waitcnt lgkmcnt(1)
	v_mul_u32_u24_sdwa v110, v54, v47 dst_sel:DWORD dst_unused:UNUSED_PAD src0_sel:WORD_0 src1_sel:DWORD
	v_mul_u32_u24_sdwa v54, v54, v47 dst_sel:DWORD dst_unused:UNUSED_PAD src0_sel:WORD_1 src1_sel:DWORD
	v_mul_u32_u24_sdwa v111, v55, v47 dst_sel:DWORD dst_unused:UNUSED_PAD src0_sel:WORD_0 src1_sel:DWORD
	v_mul_u32_u24_sdwa v55, v55, v47 dst_sel:DWORD dst_unused:UNUSED_PAD src0_sel:WORD_1 src1_sel:DWORD
	v_pk_fma_f16 v103, v152, v76, v69
	v_pk_fma_f16 v85, v152, v92, v85
	;; [unrolled: 1-line block ×7, first 2 shown]
	ds_read2_b64 v[62:65], v82 offset0:64 offset1:96
	ds_read_b128 v[66:69], v41 offset:144
	v_pk_fma_f16 v84, v152, v88, v84
	v_pk_fma_f16 v105, v153, v76, v74
	;; [unrolled: 1-line block ×9, first 2 shown]
	ds_read_b128 v[74:77], v41 offset:160
	ds_read_b128 v[5:8], v41 offset:176
	s_waitcnt lgkmcnt(4)
	v_pk_fma_f16 v89, v58, v110, v89
	v_pk_fma_f16 v94, v58, v54, v94
	;; [unrolled: 1-line block ×16, first 2 shown]
	ds_read2_b64 v[58:61], v82 offset0:128 offset1:160
	s_waitcnt lgkmcnt(4)
	v_pk_fma_f16 v103, v62, v110, v103
	v_pk_fma_f16 v113, v62, v54, v84
	;; [unrolled: 1-line block ×14, first 2 shown]
	ds_read2_b64 v[83:86], v82 offset0:192 offset1:224
	v_mul_u32_u24_sdwa v108, v56, v47 dst_sel:DWORD dst_unused:UNUSED_PAD src0_sel:WORD_0 src1_sel:DWORD
	v_mul_u32_u24_sdwa v109, v56, v47 dst_sel:DWORD dst_unused:UNUSED_PAD src0_sel:WORD_1 src1_sel:DWORD
	v_mul_u32_u24_sdwa v110, v57, v47 dst_sel:DWORD dst_unused:UNUSED_PAD src0_sel:WORD_0 src1_sel:DWORD
	v_mul_u32_u24_sdwa v111, v57, v47 dst_sel:DWORD dst_unused:UNUSED_PAD src0_sel:WORD_1 src1_sel:DWORD
	v_pk_fma_f16 v88, v65, v54, v88
	v_pk_fma_f16 v65, v65, v55, v93
	s_waitcnt lgkmcnt(1)
	v_pk_fma_f16 v89, v58, v108, v89
	v_pk_fma_f16 v93, v58, v109, v94
	;; [unrolled: 1-line block ×16, first 2 shown]
	ds_read2_b64 v[54:57], v81 offset1:32
	ds_read2_b64 v[58:61], v81 offset0:64 offset1:96
	s_waitcnt lgkmcnt(2)
	v_pk_fma_f16 v103, v83, v108, v103
	v_pk_fma_f16 v112, v83, v109, v113
	;; [unrolled: 1-line block ×14, first 2 shown]
	v_mul_u32_u24_sdwa v92, v66, v47 dst_sel:DWORD dst_unused:UNUSED_PAD src0_sel:WORD_0 src1_sel:DWORD
	v_mul_u32_u24_sdwa v66, v66, v47 dst_sel:DWORD dst_unused:UNUSED_PAD src0_sel:WORD_1 src1_sel:DWORD
	v_mul_u32_u24_sdwa v106, v67, v47 dst_sel:DWORD dst_unused:UNUSED_PAD src0_sel:WORD_0 src1_sel:DWORD
	v_mul_u32_u24_sdwa v67, v67, v47 dst_sel:DWORD dst_unused:UNUSED_PAD src0_sel:WORD_1 src1_sel:DWORD
	v_pk_fma_f16 v88, v86, v109, v88
	v_pk_fma_f16 v86, v86, v111, v65
	s_waitcnt lgkmcnt(1)
	v_pk_fma_f16 v89, v54, v92, v89
	v_pk_fma_f16 v93, v54, v66, v93
	;; [unrolled: 1-line block ×16, first 2 shown]
	s_waitcnt lgkmcnt(0)
	v_pk_fma_f16 v103, v58, v92, v103
	v_pk_fma_f16 v107, v58, v66, v112
	ds_read2_b64 v[54:57], v81 offset0:128 offset1:160
	v_pk_fma_f16 v108, v58, v106, v113
	v_pk_fma_f16 v58, v58, v67, v62
	;; [unrolled: 1-line block ×10, first 2 shown]
	ds_read2_b64 v[62:65], v81 offset0:192 offset1:224
	v_pk_fma_f16 v85, v61, v92, v85
	v_pk_fma_f16 v66, v61, v66, v88
	;; [unrolled: 1-line block ×3, first 2 shown]
	v_mul_u32_u24_sdwa v91, v68, v47 dst_sel:DWORD dst_unused:UNUSED_PAD src0_sel:WORD_0 src1_sel:DWORD
	v_mul_u32_u24_sdwa v68, v68, v47 dst_sel:DWORD dst_unused:UNUSED_PAD src0_sel:WORD_1 src1_sel:DWORD
	v_mul_u32_u24_sdwa v92, v69, v47 dst_sel:DWORD dst_unused:UNUSED_PAD src0_sel:WORD_0 src1_sel:DWORD
	v_mul_u32_u24_sdwa v69, v69, v47 dst_sel:DWORD dst_unused:UNUSED_PAD src0_sel:WORD_1 src1_sel:DWORD
	v_pk_fma_f16 v67, v61, v67, v86
	s_waitcnt lgkmcnt(1)
	v_pk_fma_f16 v86, v54, v91, v89
	v_pk_fma_f16 v89, v54, v68, v93
	;; [unrolled: 1-line block ×16, first 2 shown]
	s_waitcnt lgkmcnt(0)
	v_pk_fma_f16 v102, v62, v91, v103
	v_pk_fma_f16 v103, v62, v68, v107
	ds_read2_b64 v[54:57], v52 offset1:32
	v_pk_fma_f16 v106, v62, v92, v108
	v_pk_fma_f16 v62, v62, v69, v58
	v_pk_fma_f16 v83, v63, v91, v83
	v_pk_fma_f16 v78, v63, v68, v78
	v_pk_fma_f16 v104, v63, v92, v104
	v_pk_fma_f16 v63, v63, v69, v59
	v_pk_fma_f16 v84, v64, v91, v84
	v_pk_fma_f16 v105, v64, v68, v105
	v_pk_fma_f16 v90, v64, v92, v90
	v_pk_fma_f16 v64, v64, v69, v60
	ds_read2_b64 v[58:61], v52 offset0:64 offset1:96
	v_pk_fma_f16 v85, v65, v91, v85
	v_pk_fma_f16 v66, v65, v68, v66
	;; [unrolled: 1-line block ×3, first 2 shown]
	v_mul_u32_u24_sdwa v88, v74, v47 dst_sel:DWORD dst_unused:UNUSED_PAD src0_sel:WORD_0 src1_sel:DWORD
	v_mul_u32_u24_sdwa v74, v74, v47 dst_sel:DWORD dst_unused:UNUSED_PAD src0_sel:WORD_1 src1_sel:DWORD
	v_mul_u32_u24_sdwa v91, v75, v47 dst_sel:DWORD dst_unused:UNUSED_PAD src0_sel:WORD_0 src1_sel:DWORD
	v_mul_u32_u24_sdwa v75, v75, v47 dst_sel:DWORD dst_unused:UNUSED_PAD src0_sel:WORD_1 src1_sel:DWORD
	v_pk_fma_f16 v67, v65, v69, v67
	s_waitcnt lgkmcnt(1)
	v_pk_fma_f16 v69, v54, v88, v86
	v_pk_fma_f16 v86, v54, v74, v89
	v_pk_fma_f16 v89, v54, v91, v93
	v_pk_fma_f16 v92, v54, v75, v94
	v_pk_fma_f16 v93, v55, v88, v95
	v_pk_fma_f16 v71, v55, v74, v71
	v_pk_fma_f16 v72, v55, v91, v72
	v_pk_fma_f16 v94, v55, v75, v96
	v_pk_fma_f16 v95, v56, v88, v97
	v_pk_fma_f16 v79, v56, v74, v79
	v_pk_fma_f16 v96, v56, v91, v98
	v_pk_fma_f16 v97, v56, v75, v99
	v_pk_fma_f16 v98, v57, v88, v100
	v_pk_fma_f16 v70, v57, v74, v70
	v_pk_fma_f16 v80, v57, v91, v80
	v_pk_fma_f16 v99, v57, v75, v101
	s_waitcnt lgkmcnt(0)
	v_pk_fma_f16 v100, v58, v88, v102
	v_pk_fma_f16 v101, v58, v74, v103
	ds_read2_b64 v[54:57], v52 offset0:128 offset1:160
	v_pk_fma_f16 v102, v58, v91, v106
	v_pk_fma_f16 v58, v58, v75, v62
	v_pk_fma_f16 v83, v59, v88, v83
	v_pk_fma_f16 v78, v59, v74, v78
	v_pk_fma_f16 v103, v59, v91, v104
	v_pk_fma_f16 v59, v59, v75, v63
	v_pk_fma_f16 v84, v60, v88, v84
	v_pk_fma_f16 v104, v60, v74, v105
	v_pk_fma_f16 v90, v60, v91, v90
	v_pk_fma_f16 v60, v60, v75, v64
	ds_read2_b64 v[62:65], v52 offset0:192 offset1:224
	v_pk_fma_f16 v85, v61, v88, v85
	v_pk_fma_f16 v66, v61, v74, v66
	v_mul_u32_u24_sdwa v74, v76, v47 dst_sel:DWORD dst_unused:UNUSED_PAD src0_sel:WORD_0 src1_sel:DWORD
	v_mul_u32_u24_sdwa v76, v76, v47 dst_sel:DWORD dst_unused:UNUSED_PAD src0_sel:WORD_1 src1_sel:DWORD
	v_mul_u32_u24_sdwa v88, v77, v47 dst_sel:DWORD dst_unused:UNUSED_PAD src0_sel:WORD_0 src1_sel:DWORD
	v_mul_u32_u24_sdwa v77, v77, v47 dst_sel:DWORD dst_unused:UNUSED_PAD src0_sel:WORD_1 src1_sel:DWORD
	v_pk_fma_f16 v68, v61, v91, v68
	v_pk_fma_f16 v67, v61, v75, v67
	s_waitcnt lgkmcnt(1)
	v_pk_fma_f16 v75, v54, v76, v86
	v_pk_fma_f16 v86, v54, v88, v89
	;; [unrolled: 1-line block ×11, first 2 shown]
	s_waitcnt lgkmcnt(0)
	v_pk_fma_f16 v98, v62, v74, v100
	v_pk_fma_f16 v99, v62, v76, v101
	;; [unrolled: 1-line block ×9, first 2 shown]
	ds_read2_b64 v[58:61], v53 offset0:64 offset1:96
	v_pk_fma_f16 v71, v55, v76, v71
	v_pk_fma_f16 v72, v55, v88, v72
	;; [unrolled: 1-line block ×5, first 2 shown]
	ds_read2_b64 v[54:57], v53 offset1:32
	s_or_b32 s0, s8, 32
	v_mul_u32_u24_sdwa v179, v5, v47 dst_sel:DWORD dst_unused:UNUSED_PAD src0_sel:WORD_0 src1_sel:DWORD
	s_mul_hi_i32 s19, s0, s9
	s_mul_i32 s18, s0, s9
	v_mul_u32_u24_sdwa v180, v5, v47 dst_sel:DWORD dst_unused:UNUSED_PAD src0_sel:WORD_1 src1_sel:DWORD
	s_lshl_b64 s[18:19], s[18:19], 2
	v_mul_u32_u24_sdwa v181, v6, v47 dst_sel:DWORD dst_unused:UNUSED_PAD src0_sel:WORD_0 src1_sel:DWORD
	v_mul_u32_u24_sdwa v182, v6, v47 dst_sel:DWORD dst_unused:UNUSED_PAD src0_sel:WORD_1 src1_sel:DWORD
	s_add_u32 s0, s12, s18
	s_addc_u32 s15, s13, s19
	v_add_co_u32 v5, vcc_lo, s0, v27
	v_add_co_ci_u32_e64 v6, null, s15, v28, vcc_lo
	s_waitcnt lgkmcnt(1)
	v_pk_fma_f16 v195, v58, v179, v98
	v_pk_fma_f16 v196, v58, v180, v99
	;; [unrolled: 1-line block ×4, first 2 shown]
	v_add_co_u32 v58, vcc_lo, s0, v29
	v_pk_fma_f16 v199, v59, v179, v83
	v_pk_fma_f16 v78, v59, v180, v78
	;; [unrolled: 1-line block ×4, first 2 shown]
	v_add_co_ci_u32_e64 v59, null, s15, v30, vcc_lo
	v_add_co_u32 v5, vcc_lo, v5, v87
	v_add_co_ci_u32_e64 v6, null, 0, v6, vcc_lo
	v_add_co_u32 v58, vcc_lo, v58, v87
	v_add_co_ci_u32_e64 v59, null, 0, v59, vcc_lo
	v_pk_fma_f16 v172, v64, v74, v84
	v_pk_fma_f16 v173, v64, v76, v104
	;; [unrolled: 1-line block ×7, first 2 shown]
	s_waitcnt lgkmcnt(0)
	v_pk_fma_f16 v184, v54, v179, v69
	v_pk_fma_f16 v185, v54, v180, v75
	;; [unrolled: 1-line block ×16, first 2 shown]
	ds_read2_b64 v[54:57], v53 offset0:128 offset1:160
	ds_read2_b64 v[62:65], v53 offset0:192 offset1:224
	ds_read2_b64 v[66:69], v51 offset1:32
	ds_read2_b64 v[74:77], v51 offset0:64 offset1:96
	ds_read2_b64 v[83:86], v51 offset0:128 offset1:160
	ds_read2_b64 v[88:91], v51 offset0:192 offset1:224
	ds_read2_b64 v[92:95], v50 offset1:32
	ds_read2_b64 v[96:99], v50 offset0:64 offset1:96
	ds_read_b128 v[100:103], v41 offset:192
	ds_read_b128 v[104:107], v41 offset:208
	ds_read2_b64 v[108:111], v50 offset0:128 offset1:160
	ds_read2_b64 v[112:115], v50 offset0:192 offset1:224
	ds_read2_b64 v[116:119], v49 offset1:32
	ds_read2_b64 v[120:123], v49 offset0:64 offset1:96
	ds_read2_b64 v[124:127], v49 offset0:128 offset1:160
	;; [unrolled: 1-line block ×3, first 2 shown]
	ds_read2_b64 v[132:135], v48 offset1:32
	ds_read2_b64 v[136:139], v48 offset0:64 offset1:96
	ds_read_b128 v[140:143], v41 offset:224
	ds_read_b128 v[144:147], v41 offset:240
	ds_read2_b64 v[148:151], v48 offset0:128 offset1:160
	ds_read2_b64 v[152:155], v48 offset0:192 offset1:224
	s_waitcnt lgkmcnt(0)
	s_barrier
	buffer_gl0_inv
	s_clause 0x3
	global_load_dwordx4 v[156:159], v[5:6], off
	global_load_dwordx4 v[160:163], v[5:6], off offset:512
	global_load_dwordx4 v[164:167], v[58:59], off
	global_load_dwordx4 v[168:171], v[58:59], off offset:512
	v_pk_fma_f16 v5, v60, v179, v172
	v_pk_fma_f16 v6, v60, v180, v173
	;; [unrolled: 1-line block ×6, first 2 shown]
	v_mul_u32_u24_sdwa v174, v7, v47 dst_sel:DWORD dst_unused:UNUSED_PAD src0_sel:WORD_0 src1_sel:DWORD
	v_mul_u32_u24_sdwa v7, v7, v47 dst_sel:DWORD dst_unused:UNUSED_PAD src0_sel:WORD_1 src1_sel:DWORD
	v_mul_u32_u24_sdwa v175, v8, v47 dst_sel:DWORD dst_unused:UNUSED_PAD src0_sel:WORD_0 src1_sel:DWORD
	v_mul_u32_u24_sdwa v8, v8, v47 dst_sel:DWORD dst_unused:UNUSED_PAD src0_sel:WORD_1 src1_sel:DWORD
	v_pk_fma_f16 v60, v61, v179, v176
	v_pk_fma_f16 v61, v61, v182, v183
	;; [unrolled: 1-line block ×32, first 2 shown]
	v_mul_u32_u24_sdwa v172, v100, v47 dst_sel:DWORD dst_unused:UNUSED_PAD src0_sel:WORD_0 src1_sel:DWORD
	v_mul_u32_u24_sdwa v100, v100, v47 dst_sel:DWORD dst_unused:UNUSED_PAD src0_sel:WORD_1 src1_sel:DWORD
	v_mul_u32_u24_sdwa v173, v101, v47 dst_sel:DWORD dst_unused:UNUSED_PAD src0_sel:WORD_0 src1_sel:DWORD
	v_mul_u32_u24_sdwa v101, v101, v47 dst_sel:DWORD dst_unused:UNUSED_PAD src0_sel:WORD_1 src1_sel:DWORD
	v_pk_fma_f16 v60, v65, v174, v60
	v_pk_fma_f16 v8, v65, v8, v61
	;; [unrolled: 1-line block ×31, first 2 shown]
	v_mul_u32_u24_sdwa v75, v102, v47 dst_sel:DWORD dst_unused:UNUSED_PAD src0_sel:WORD_0 src1_sel:DWORD
	v_mul_u32_u24_sdwa v76, v102, v47 dst_sel:DWORD dst_unused:UNUSED_PAD src0_sel:WORD_1 src1_sel:DWORD
	v_mul_u32_u24_sdwa v100, v103, v47 dst_sel:DWORD dst_unused:UNUSED_PAD src0_sel:WORD_0 src1_sel:DWORD
	v_mul_u32_u24_sdwa v102, v103, v47 dst_sel:DWORD dst_unused:UNUSED_PAD src0_sel:WORD_1 src1_sel:DWORD
	v_pk_fma_f16 v60, v77, v172, v60
	v_pk_fma_f16 v8, v77, v101, v8
	v_pk_fma_f16 v68, v86, v75, v68
	v_pk_fma_f16 v70, v86, v76, v70
	v_pk_fma_f16 v54, v83, v102, v54
	v_pk_fma_f16 v55, v84, v102, v55
	v_pk_fma_f16 v56, v85, v102, v56
	v_pk_fma_f16 v80, v86, v100, v80
	v_pk_fma_f16 v57, v86, v102, v57
	v_pk_fma_f16 v74, v89, v75, v74
	v_pk_fma_f16 v78, v89, v76, v78
	v_pk_fma_f16 v86, v89, v100, v178
	v_pk_fma_f16 v63, v89, v102, v63
	v_mul_u32_u24_sdwa v89, v105, v47 dst_sel:DWORD dst_unused:UNUSED_PAD src0_sel:WORD_1 src1_sel:DWORD
	v_pk_fma_f16 v64, v77, v173, v64
	v_pk_fma_f16 v61, v83, v75, v61
	v_pk_fma_f16 v65, v83, v76, v65
	v_pk_fma_f16 v66, v84, v75, v66
	v_pk_fma_f16 v71, v84, v76, v71
	v_pk_fma_f16 v72, v84, v100, v72
	v_pk_fma_f16 v67, v85, v75, v67
	v_pk_fma_f16 v79, v85, v76, v79
	v_pk_fma_f16 v69, v88, v75, v69
	v_pk_fma_f16 v84, v88, v76, v176
	v_pk_fma_f16 v62, v88, v102, v62
	v_pk_fma_f16 v5, v90, v75, v5
	v_pk_fma_f16 v6, v90, v76, v6
	v_pk_fma_f16 v58, v90, v100, v58
	v_pk_fma_f16 v59, v90, v102, v59
	v_pk_fma_f16 v60, v91, v75, v60
	v_pk_fma_f16 v7, v91, v76, v7
	v_mul_u32_u24_sdwa v75, v104, v47 dst_sel:DWORD dst_unused:UNUSED_PAD src0_sel:WORD_0 src1_sel:DWORD
	v_mul_u32_u24_sdwa v76, v104, v47 dst_sel:DWORD dst_unused:UNUSED_PAD src0_sel:WORD_1 src1_sel:DWORD
	v_pk_fma_f16 v8, v91, v102, v8
	v_pk_fma_f16 v54, v92, v89, v54
	;; [unrolled: 1-line block ×5, first 2 shown]
	v_mul_u32_u24_sdwa v90, v107, v47 dst_sel:DWORD dst_unused:UNUSED_PAD src0_sel:WORD_1 src1_sel:DWORD
	v_pk_fma_f16 v77, v83, v100, v174
	v_pk_fma_f16 v83, v85, v100, v175
	v_pk_fma_f16 v85, v88, v100, v177
	v_pk_fma_f16 v64, v91, v100, v64
	v_mul_u32_u24_sdwa v88, v105, v47 dst_sel:DWORD dst_unused:UNUSED_PAD src0_sel:WORD_0 src1_sel:DWORD
	v_pk_fma_f16 v61, v92, v75, v61
	v_pk_fma_f16 v65, v92, v76, v65
	v_pk_fma_f16 v66, v93, v75, v66
	v_pk_fma_f16 v71, v93, v76, v71
	v_pk_fma_f16 v67, v94, v75, v67
	v_pk_fma_f16 v79, v94, v76, v79
	v_pk_fma_f16 v68, v95, v75, v68
	v_pk_fma_f16 v70, v95, v76, v70
	v_pk_fma_f16 v69, v96, v75, v69
	v_pk_fma_f16 v84, v96, v76, v84
	v_pk_fma_f16 v62, v96, v89, v62
	v_pk_fma_f16 v74, v97, v75, v74
	v_pk_fma_f16 v78, v97, v76, v78
	v_pk_fma_f16 v63, v97, v89, v63
	v_pk_fma_f16 v5, v98, v75, v5
	v_pk_fma_f16 v6, v98, v76, v6
	v_pk_fma_f16 v59, v98, v89, v59
	v_pk_fma_f16 v60, v99, v75, v60
	v_pk_fma_f16 v7, v99, v76, v7
	v_mul_u32_u24_sdwa v75, v106, v47 dst_sel:DWORD dst_unused:UNUSED_PAD src0_sel:WORD_0 src1_sel:DWORD
	v_mul_u32_u24_sdwa v76, v106, v47 dst_sel:DWORD dst_unused:UNUSED_PAD src0_sel:WORD_1 src1_sel:DWORD
	v_pk_fma_f16 v8, v99, v89, v8
	v_pk_fma_f16 v54, v108, v90, v54
	v_pk_fma_f16 v55, v109, v90, v55
	v_pk_fma_f16 v56, v110, v90, v56
	v_pk_fma_f16 v57, v111, v90, v57
	v_mul_u32_u24_sdwa v89, v141, v47 dst_sel:DWORD dst_unused:UNUSED_PAD src0_sel:WORD_1 src1_sel:DWORD
	v_pk_fma_f16 v77, v92, v88, v77
	v_pk_fma_f16 v72, v93, v88, v72
	v_pk_fma_f16 v83, v94, v88, v83
	v_pk_fma_f16 v80, v95, v88, v80
	v_pk_fma_f16 v85, v96, v88, v85
	v_pk_fma_f16 v86, v97, v88, v86
	v_pk_fma_f16 v58, v98, v88, v58
	v_pk_fma_f16 v64, v99, v88, v64
	v_mul_u32_u24_sdwa v88, v107, v47 dst_sel:DWORD dst_unused:UNUSED_PAD src0_sel:WORD_0 src1_sel:DWORD
	v_pk_fma_f16 v61, v108, v75, v61
	v_pk_fma_f16 v65, v108, v76, v65
	v_pk_fma_f16 v66, v109, v75, v66
	v_pk_fma_f16 v71, v109, v76, v71
	v_pk_fma_f16 v67, v110, v75, v67
	v_pk_fma_f16 v79, v110, v76, v79
	v_pk_fma_f16 v68, v111, v75, v68
	v_pk_fma_f16 v70, v111, v76, v70
	v_pk_fma_f16 v69, v112, v75, v69
	v_pk_fma_f16 v84, v112, v76, v84
	v_pk_fma_f16 v62, v112, v90, v62
	v_pk_fma_f16 v74, v113, v75, v74
	v_pk_fma_f16 v78, v113, v76, v78
	v_pk_fma_f16 v63, v113, v90, v63
	v_pk_fma_f16 v5, v114, v75, v5
	v_pk_fma_f16 v6, v114, v76, v6
	v_pk_fma_f16 v59, v114, v90, v59
	v_pk_fma_f16 v60, v115, v75, v60
	v_pk_fma_f16 v7, v115, v76, v7
	v_mul_u32_u24_sdwa v75, v140, v47 dst_sel:DWORD dst_unused:UNUSED_PAD src0_sel:WORD_0 src1_sel:DWORD
	v_mul_u32_u24_sdwa v76, v140, v47 dst_sel:DWORD dst_unused:UNUSED_PAD src0_sel:WORD_1 src1_sel:DWORD
	v_pk_fma_f16 v8, v115, v90, v8
	v_pk_fma_f16 v54, v116, v89, v54
	v_pk_fma_f16 v55, v117, v89, v55
	v_pk_fma_f16 v56, v118, v89, v56
	v_pk_fma_f16 v57, v119, v89, v57
	v_mul_u32_u24_sdwa v90, v143, v47 dst_sel:DWORD dst_unused:UNUSED_PAD src0_sel:WORD_1 src1_sel:DWORD
	v_pk_fma_f16 v77, v108, v88, v77
	v_pk_fma_f16 v72, v109, v88, v72
	v_pk_fma_f16 v83, v110, v88, v83
	v_pk_fma_f16 v80, v111, v88, v80
	v_pk_fma_f16 v85, v112, v88, v85
	v_pk_fma_f16 v86, v113, v88, v86
	v_pk_fma_f16 v58, v114, v88, v58
	v_pk_fma_f16 v64, v115, v88, v64
	v_mul_u32_u24_sdwa v88, v141, v47 dst_sel:DWORD dst_unused:UNUSED_PAD src0_sel:WORD_0 src1_sel:DWORD
	v_pk_fma_f16 v61, v116, v75, v61
	v_pk_fma_f16 v65, v116, v76, v65
	v_pk_fma_f16 v66, v117, v75, v66
	v_pk_fma_f16 v71, v117, v76, v71
	v_pk_fma_f16 v67, v118, v75, v67
	v_pk_fma_f16 v79, v118, v76, v79
	v_pk_fma_f16 v68, v119, v75, v68
	v_pk_fma_f16 v70, v119, v76, v70
	v_pk_fma_f16 v69, v120, v75, v69
	v_pk_fma_f16 v84, v120, v76, v84
	v_pk_fma_f16 v62, v120, v89, v62
	v_pk_fma_f16 v74, v121, v75, v74
	v_pk_fma_f16 v78, v121, v76, v78
	v_pk_fma_f16 v63, v121, v89, v63
	v_pk_fma_f16 v5, v122, v75, v5
	v_pk_fma_f16 v6, v122, v76, v6
	v_pk_fma_f16 v59, v122, v89, v59
	v_pk_fma_f16 v60, v123, v75, v60
	v_pk_fma_f16 v7, v123, v76, v7
	v_mul_u32_u24_sdwa v75, v142, v47 dst_sel:DWORD dst_unused:UNUSED_PAD src0_sel:WORD_0 src1_sel:DWORD
	v_mul_u32_u24_sdwa v76, v142, v47 dst_sel:DWORD dst_unused:UNUSED_PAD src0_sel:WORD_1 src1_sel:DWORD
	v_pk_fma_f16 v8, v123, v89, v8
	v_pk_fma_f16 v54, v124, v90, v54
	v_pk_fma_f16 v55, v125, v90, v55
	v_pk_fma_f16 v56, v126, v90, v56
	v_pk_fma_f16 v57, v127, v90, v57
	v_mul_u32_u24_sdwa v89, v145, v47 dst_sel:DWORD dst_unused:UNUSED_PAD src0_sel:WORD_1 src1_sel:DWORD
	v_pk_fma_f16 v77, v116, v88, v77
	v_pk_fma_f16 v72, v117, v88, v72
	v_pk_fma_f16 v83, v118, v88, v83
	v_pk_fma_f16 v80, v119, v88, v80
	v_pk_fma_f16 v85, v120, v88, v85
	v_pk_fma_f16 v86, v121, v88, v86
	v_pk_fma_f16 v58, v122, v88, v58
	v_pk_fma_f16 v64, v123, v88, v64
	v_mul_u32_u24_sdwa v88, v143, v47 dst_sel:DWORD dst_unused:UNUSED_PAD src0_sel:WORD_0 src1_sel:DWORD
	v_pk_fma_f16 v61, v124, v75, v61
	v_pk_fma_f16 v65, v124, v76, v65
	;; [unrolled: 1-line block ×16, first 2 shown]
	v_mul_u32_u24_sdwa v75, v144, v47 dst_sel:DWORD dst_unused:UNUSED_PAD src0_sel:WORD_0 src1_sel:DWORD
	v_mul_u32_u24_sdwa v76, v144, v47 dst_sel:DWORD dst_unused:UNUSED_PAD src0_sel:WORD_1 src1_sel:DWORD
	v_pk_fma_f16 v54, v132, v89, v54
	v_pk_fma_f16 v55, v133, v89, v55
	;; [unrolled: 1-line block ×4, first 2 shown]
	v_mul_u32_u24_sdwa v93, v147, v47 dst_sel:DWORD dst_unused:UNUSED_PAD src0_sel:WORD_1 src1_sel:DWORD
	v_pk_fma_f16 v77, v124, v88, v77
	v_pk_fma_f16 v72, v125, v88, v72
	;; [unrolled: 1-line block ×11, first 2 shown]
	v_mul_u32_u24_sdwa v88, v145, v47 dst_sel:DWORD dst_unused:UNUSED_PAD src0_sel:WORD_0 src1_sel:DWORD
	v_pk_fma_f16 v8, v131, v90, v8
	v_pk_fma_f16 v61, v132, v75, v61
	;; [unrolled: 1-line block ×10, first 2 shown]
	v_mul_u32_u24_sdwa v76, v146, v47 dst_sel:DWORD dst_unused:UNUSED_PAD src0_sel:WORD_0 src1_sel:DWORD
	v_pk_fma_f16 v96, v148, v93, v54
	v_pk_fma_f16 v98, v149, v93, v55
	v_pk_fma_f16 v100, v150, v93, v56
	v_pk_fma_f16 v102, v151, v93, v57
	s_waitcnt vmcnt(3)
	ds_write_b128 v42, v[156:159]
	s_waitcnt vmcnt(2)
	ds_write_b128 v43, v[160:163]
	;; [unrolled: 2-line block ×4, first 2 shown]
	s_waitcnt lgkmcnt(0)
	s_barrier
	buffer_gl0_inv
	ds_read_b128 v[54:57], v41 offset:256
	v_pk_fma_f16 v66, v133, v75, v66
	v_pk_fma_f16 v67, v134, v75, v67
	;; [unrolled: 1-line block ×13, first 2 shown]
	ds_read2_b64 v[58:61], v82 offset1:32
	v_pk_fma_f16 v77, v132, v88, v77
	v_pk_fma_f16 v72, v133, v88, v72
	;; [unrolled: 1-line block ×7, first 2 shown]
	v_mul_u32_u24_sdwa v88, v146, v47 dst_sel:DWORD dst_unused:UNUSED_PAD src0_sel:WORD_1 src1_sel:DWORD
	v_mul_u32_u24_sdwa v92, v147, v47 dst_sel:DWORD dst_unused:UNUSED_PAD src0_sel:WORD_0 src1_sel:DWORD
	v_pk_fma_f16 v97, v149, v76, v66
	v_pk_fma_f16 v99, v150, v76, v67
	;; [unrolled: 1-line block ×11, first 2 shown]
	s_waitcnt lgkmcnt(1)
	v_mul_u32_u24_sdwa v110, v54, v47 dst_sel:DWORD dst_unused:UNUSED_PAD src0_sel:WORD_0 src1_sel:DWORD
	v_mul_u32_u24_sdwa v54, v54, v47 dst_sel:DWORD dst_unused:UNUSED_PAD src0_sel:WORD_1 src1_sel:DWORD
	v_mul_u32_u24_sdwa v111, v55, v47 dst_sel:DWORD dst_unused:UNUSED_PAD src0_sel:WORD_0 src1_sel:DWORD
	v_mul_u32_u24_sdwa v55, v55, v47 dst_sel:DWORD dst_unused:UNUSED_PAD src0_sel:WORD_1 src1_sel:DWORD
	v_pk_fma_f16 v103, v152, v76, v69
	v_pk_fma_f16 v85, v152, v92, v85
	;; [unrolled: 1-line block ×7, first 2 shown]
	ds_read2_b64 v[62:65], v82 offset0:64 offset1:96
	ds_read_b128 v[66:69], v41 offset:272
	v_pk_fma_f16 v84, v152, v88, v84
	v_pk_fma_f16 v105, v153, v76, v74
	;; [unrolled: 1-line block ×9, first 2 shown]
	ds_read_b128 v[74:77], v41 offset:288
	ds_read_b128 v[5:8], v41 offset:304
	s_waitcnt lgkmcnt(4)
	v_pk_fma_f16 v89, v58, v110, v89
	v_pk_fma_f16 v94, v58, v54, v94
	;; [unrolled: 1-line block ×16, first 2 shown]
	ds_read2_b64 v[58:61], v82 offset0:128 offset1:160
	s_waitcnt lgkmcnt(4)
	v_pk_fma_f16 v103, v62, v110, v103
	v_pk_fma_f16 v113, v62, v54, v84
	;; [unrolled: 1-line block ×14, first 2 shown]
	ds_read2_b64 v[83:86], v82 offset0:192 offset1:224
	v_mul_u32_u24_sdwa v108, v56, v47 dst_sel:DWORD dst_unused:UNUSED_PAD src0_sel:WORD_0 src1_sel:DWORD
	v_mul_u32_u24_sdwa v109, v56, v47 dst_sel:DWORD dst_unused:UNUSED_PAD src0_sel:WORD_1 src1_sel:DWORD
	v_mul_u32_u24_sdwa v110, v57, v47 dst_sel:DWORD dst_unused:UNUSED_PAD src0_sel:WORD_0 src1_sel:DWORD
	v_mul_u32_u24_sdwa v111, v57, v47 dst_sel:DWORD dst_unused:UNUSED_PAD src0_sel:WORD_1 src1_sel:DWORD
	v_pk_fma_f16 v88, v65, v54, v88
	v_pk_fma_f16 v65, v65, v55, v93
	s_waitcnt lgkmcnt(1)
	v_pk_fma_f16 v89, v58, v108, v89
	v_pk_fma_f16 v93, v58, v109, v94
	;; [unrolled: 1-line block ×16, first 2 shown]
	ds_read2_b64 v[54:57], v81 offset1:32
	ds_read2_b64 v[58:61], v81 offset0:64 offset1:96
	s_waitcnt lgkmcnt(2)
	v_pk_fma_f16 v103, v83, v108, v103
	v_pk_fma_f16 v112, v83, v109, v113
	;; [unrolled: 1-line block ×14, first 2 shown]
	v_mul_u32_u24_sdwa v92, v66, v47 dst_sel:DWORD dst_unused:UNUSED_PAD src0_sel:WORD_0 src1_sel:DWORD
	v_mul_u32_u24_sdwa v66, v66, v47 dst_sel:DWORD dst_unused:UNUSED_PAD src0_sel:WORD_1 src1_sel:DWORD
	v_mul_u32_u24_sdwa v106, v67, v47 dst_sel:DWORD dst_unused:UNUSED_PAD src0_sel:WORD_0 src1_sel:DWORD
	v_mul_u32_u24_sdwa v67, v67, v47 dst_sel:DWORD dst_unused:UNUSED_PAD src0_sel:WORD_1 src1_sel:DWORD
	v_pk_fma_f16 v88, v86, v109, v88
	v_pk_fma_f16 v86, v86, v111, v65
	s_waitcnt lgkmcnt(1)
	v_pk_fma_f16 v89, v54, v92, v89
	v_pk_fma_f16 v93, v54, v66, v93
	;; [unrolled: 1-line block ×16, first 2 shown]
	s_waitcnt lgkmcnt(0)
	v_pk_fma_f16 v103, v58, v92, v103
	v_pk_fma_f16 v107, v58, v66, v112
	ds_read2_b64 v[54:57], v81 offset0:128 offset1:160
	v_pk_fma_f16 v108, v58, v106, v113
	v_pk_fma_f16 v58, v58, v67, v62
	;; [unrolled: 1-line block ×10, first 2 shown]
	ds_read2_b64 v[62:65], v81 offset0:192 offset1:224
	v_pk_fma_f16 v85, v61, v92, v85
	v_pk_fma_f16 v66, v61, v66, v88
	;; [unrolled: 1-line block ×3, first 2 shown]
	v_mul_u32_u24_sdwa v91, v68, v47 dst_sel:DWORD dst_unused:UNUSED_PAD src0_sel:WORD_0 src1_sel:DWORD
	v_mul_u32_u24_sdwa v68, v68, v47 dst_sel:DWORD dst_unused:UNUSED_PAD src0_sel:WORD_1 src1_sel:DWORD
	v_mul_u32_u24_sdwa v92, v69, v47 dst_sel:DWORD dst_unused:UNUSED_PAD src0_sel:WORD_0 src1_sel:DWORD
	v_mul_u32_u24_sdwa v69, v69, v47 dst_sel:DWORD dst_unused:UNUSED_PAD src0_sel:WORD_1 src1_sel:DWORD
	v_pk_fma_f16 v67, v61, v67, v86
	s_waitcnt lgkmcnt(1)
	v_pk_fma_f16 v86, v54, v91, v89
	v_pk_fma_f16 v89, v54, v68, v93
	;; [unrolled: 1-line block ×16, first 2 shown]
	s_waitcnt lgkmcnt(0)
	v_pk_fma_f16 v102, v62, v91, v103
	v_pk_fma_f16 v103, v62, v68, v107
	ds_read2_b64 v[54:57], v52 offset1:32
	v_pk_fma_f16 v106, v62, v92, v108
	v_pk_fma_f16 v62, v62, v69, v58
	;; [unrolled: 1-line block ×10, first 2 shown]
	ds_read2_b64 v[58:61], v52 offset0:64 offset1:96
	v_pk_fma_f16 v85, v65, v91, v85
	v_pk_fma_f16 v66, v65, v68, v66
	;; [unrolled: 1-line block ×3, first 2 shown]
	v_mul_u32_u24_sdwa v88, v74, v47 dst_sel:DWORD dst_unused:UNUSED_PAD src0_sel:WORD_0 src1_sel:DWORD
	v_mul_u32_u24_sdwa v74, v74, v47 dst_sel:DWORD dst_unused:UNUSED_PAD src0_sel:WORD_1 src1_sel:DWORD
	v_mul_u32_u24_sdwa v91, v75, v47 dst_sel:DWORD dst_unused:UNUSED_PAD src0_sel:WORD_0 src1_sel:DWORD
	v_mul_u32_u24_sdwa v75, v75, v47 dst_sel:DWORD dst_unused:UNUSED_PAD src0_sel:WORD_1 src1_sel:DWORD
	v_pk_fma_f16 v67, v65, v69, v67
	s_waitcnt lgkmcnt(1)
	v_pk_fma_f16 v69, v54, v88, v86
	v_pk_fma_f16 v86, v54, v74, v89
	;; [unrolled: 1-line block ×16, first 2 shown]
	s_waitcnt lgkmcnt(0)
	v_pk_fma_f16 v100, v58, v88, v102
	v_pk_fma_f16 v101, v58, v74, v103
	ds_read2_b64 v[54:57], v52 offset0:128 offset1:160
	v_pk_fma_f16 v102, v58, v91, v106
	v_pk_fma_f16 v58, v58, v75, v62
	;; [unrolled: 1-line block ×10, first 2 shown]
	ds_read2_b64 v[62:65], v52 offset0:192 offset1:224
	v_pk_fma_f16 v85, v61, v88, v85
	v_pk_fma_f16 v66, v61, v74, v66
	v_mul_u32_u24_sdwa v74, v76, v47 dst_sel:DWORD dst_unused:UNUSED_PAD src0_sel:WORD_0 src1_sel:DWORD
	v_mul_u32_u24_sdwa v76, v76, v47 dst_sel:DWORD dst_unused:UNUSED_PAD src0_sel:WORD_1 src1_sel:DWORD
	v_mul_u32_u24_sdwa v88, v77, v47 dst_sel:DWORD dst_unused:UNUSED_PAD src0_sel:WORD_0 src1_sel:DWORD
	v_mul_u32_u24_sdwa v77, v77, v47 dst_sel:DWORD dst_unused:UNUSED_PAD src0_sel:WORD_1 src1_sel:DWORD
	v_pk_fma_f16 v68, v61, v91, v68
	v_pk_fma_f16 v67, v61, v75, v67
	s_waitcnt lgkmcnt(1)
	v_pk_fma_f16 v75, v54, v76, v86
	v_pk_fma_f16 v86, v54, v88, v89
	;; [unrolled: 1-line block ×11, first 2 shown]
	s_waitcnt lgkmcnt(0)
	v_pk_fma_f16 v98, v62, v74, v100
	v_pk_fma_f16 v99, v62, v76, v101
	;; [unrolled: 1-line block ×9, first 2 shown]
	ds_read2_b64 v[58:61], v53 offset0:64 offset1:96
	v_pk_fma_f16 v71, v55, v76, v71
	v_pk_fma_f16 v72, v55, v88, v72
	;; [unrolled: 1-line block ×5, first 2 shown]
	ds_read2_b64 v[54:57], v53 offset1:32
	s_or_b32 s0, s8, 48
	v_mul_u32_u24_sdwa v179, v5, v47 dst_sel:DWORD dst_unused:UNUSED_PAD src0_sel:WORD_0 src1_sel:DWORD
	s_mul_hi_i32 s19, s0, s9
	s_mul_i32 s18, s0, s9
	v_mul_u32_u24_sdwa v180, v5, v47 dst_sel:DWORD dst_unused:UNUSED_PAD src0_sel:WORD_1 src1_sel:DWORD
	s_lshl_b64 s[18:19], s[18:19], 2
	v_mul_u32_u24_sdwa v181, v6, v47 dst_sel:DWORD dst_unused:UNUSED_PAD src0_sel:WORD_0 src1_sel:DWORD
	v_mul_u32_u24_sdwa v182, v6, v47 dst_sel:DWORD dst_unused:UNUSED_PAD src0_sel:WORD_1 src1_sel:DWORD
	s_add_u32 s0, s12, s18
	s_addc_u32 s15, s13, s19
	v_add_co_u32 v5, vcc_lo, s0, v27
	v_add_co_ci_u32_e64 v6, null, s15, v28, vcc_lo
	s_waitcnt lgkmcnt(1)
	v_pk_fma_f16 v195, v58, v179, v98
	v_pk_fma_f16 v196, v58, v180, v99
	;; [unrolled: 1-line block ×4, first 2 shown]
	v_add_co_u32 v58, vcc_lo, s0, v29
	v_pk_fma_f16 v199, v59, v179, v83
	v_pk_fma_f16 v78, v59, v180, v78
	;; [unrolled: 1-line block ×4, first 2 shown]
	v_add_co_ci_u32_e64 v59, null, s15, v30, vcc_lo
	v_add_co_u32 v5, vcc_lo, v5, v87
	v_add_co_ci_u32_e64 v6, null, 0, v6, vcc_lo
	v_add_co_u32 v58, vcc_lo, v58, v87
	v_add_co_ci_u32_e64 v59, null, 0, v59, vcc_lo
	v_pk_fma_f16 v172, v64, v74, v84
	v_pk_fma_f16 v173, v64, v76, v104
	;; [unrolled: 1-line block ×7, first 2 shown]
	s_waitcnt lgkmcnt(0)
	v_pk_fma_f16 v184, v54, v179, v69
	v_pk_fma_f16 v185, v54, v180, v75
	v_pk_fma_f16 v186, v54, v181, v86
	v_pk_fma_f16 v187, v54, v182, v89
	v_pk_fma_f16 v188, v55, v179, v91
	v_pk_fma_f16 v71, v55, v180, v71
	v_pk_fma_f16 v72, v55, v181, v72
	v_pk_fma_f16 v189, v55, v182, v92
	v_pk_fma_f16 v190, v56, v179, v93
	v_pk_fma_f16 v79, v56, v180, v79
	v_pk_fma_f16 v191, v56, v181, v94
	v_pk_fma_f16 v192, v56, v182, v95
	v_pk_fma_f16 v193, v57, v179, v96
	v_pk_fma_f16 v70, v57, v180, v70
	v_pk_fma_f16 v80, v57, v181, v80
	v_pk_fma_f16 v194, v57, v182, v97
	ds_read2_b64 v[54:57], v53 offset0:128 offset1:160
	ds_read2_b64 v[62:65], v53 offset0:192 offset1:224
	ds_read2_b64 v[66:69], v51 offset1:32
	ds_read2_b64 v[74:77], v51 offset0:64 offset1:96
	ds_read2_b64 v[83:86], v51 offset0:128 offset1:160
	;; [unrolled: 1-line block ×3, first 2 shown]
	ds_read2_b64 v[92:95], v50 offset1:32
	ds_read2_b64 v[96:99], v50 offset0:64 offset1:96
	ds_read_b128 v[100:103], v41 offset:320
	ds_read_b128 v[104:107], v41 offset:336
	ds_read2_b64 v[108:111], v50 offset0:128 offset1:160
	ds_read2_b64 v[112:115], v50 offset0:192 offset1:224
	ds_read2_b64 v[116:119], v49 offset1:32
	ds_read2_b64 v[120:123], v49 offset0:64 offset1:96
	ds_read2_b64 v[124:127], v49 offset0:128 offset1:160
	;; [unrolled: 1-line block ×3, first 2 shown]
	ds_read2_b64 v[132:135], v48 offset1:32
	ds_read2_b64 v[136:139], v48 offset0:64 offset1:96
	ds_read_b128 v[140:143], v41 offset:352
	ds_read_b128 v[144:147], v41 offset:368
	ds_read2_b64 v[148:151], v48 offset0:128 offset1:160
	ds_read2_b64 v[152:155], v48 offset0:192 offset1:224
	s_waitcnt lgkmcnt(0)
	s_barrier
	buffer_gl0_inv
	s_clause 0x3
	global_load_dwordx4 v[156:159], v[5:6], off
	global_load_dwordx4 v[160:163], v[5:6], off offset:512
	global_load_dwordx4 v[164:167], v[58:59], off
	global_load_dwordx4 v[168:171], v[58:59], off offset:512
	v_pk_fma_f16 v5, v60, v179, v172
	v_pk_fma_f16 v6, v60, v180, v173
	;; [unrolled: 1-line block ×6, first 2 shown]
	v_mul_u32_u24_sdwa v174, v7, v47 dst_sel:DWORD dst_unused:UNUSED_PAD src0_sel:WORD_0 src1_sel:DWORD
	v_mul_u32_u24_sdwa v7, v7, v47 dst_sel:DWORD dst_unused:UNUSED_PAD src0_sel:WORD_1 src1_sel:DWORD
	v_mul_u32_u24_sdwa v175, v8, v47 dst_sel:DWORD dst_unused:UNUSED_PAD src0_sel:WORD_0 src1_sel:DWORD
	v_mul_u32_u24_sdwa v8, v8, v47 dst_sel:DWORD dst_unused:UNUSED_PAD src0_sel:WORD_1 src1_sel:DWORD
	v_pk_fma_f16 v60, v61, v179, v176
	v_pk_fma_f16 v61, v61, v182, v183
	v_pk_fma_f16 v176, v54, v174, v184
	v_pk_fma_f16 v177, v54, v7, v185
	v_pk_fma_f16 v178, v54, v175, v186
	v_pk_fma_f16 v54, v54, v8, v187
	v_pk_fma_f16 v179, v55, v174, v188
	v_pk_fma_f16 v71, v55, v7, v71
	v_pk_fma_f16 v72, v55, v175, v72
	v_pk_fma_f16 v55, v55, v8, v189
	v_pk_fma_f16 v180, v56, v174, v190
	v_pk_fma_f16 v79, v56, v7, v79
	v_pk_fma_f16 v181, v56, v175, v191
	v_pk_fma_f16 v56, v56, v8, v192
	v_pk_fma_f16 v182, v57, v174, v193
	v_pk_fma_f16 v70, v57, v7, v70
	v_pk_fma_f16 v80, v57, v175, v80
	v_pk_fma_f16 v57, v57, v8, v194
	v_pk_fma_f16 v183, v62, v174, v195
	v_pk_fma_f16 v184, v62, v7, v196
	v_pk_fma_f16 v185, v62, v175, v197
	v_pk_fma_f16 v62, v62, v8, v198
	v_pk_fma_f16 v186, v63, v174, v199
	v_pk_fma_f16 v78, v63, v7, v78
	v_pk_fma_f16 v187, v63, v175, v200
	v_pk_fma_f16 v63, v63, v8, v201
	v_pk_fma_f16 v5, v64, v174, v5
	v_pk_fma_f16 v6, v64, v7, v6
	v_pk_fma_f16 v58, v64, v175, v58
	v_pk_fma_f16 v59, v64, v8, v59
	v_pk_fma_f16 v7, v65, v7, v172
	v_pk_fma_f16 v64, v65, v175, v173
	v_mul_u32_u24_sdwa v172, v100, v47 dst_sel:DWORD dst_unused:UNUSED_PAD src0_sel:WORD_0 src1_sel:DWORD
	v_mul_u32_u24_sdwa v100, v100, v47 dst_sel:DWORD dst_unused:UNUSED_PAD src0_sel:WORD_1 src1_sel:DWORD
	v_mul_u32_u24_sdwa v173, v101, v47 dst_sel:DWORD dst_unused:UNUSED_PAD src0_sel:WORD_0 src1_sel:DWORD
	v_mul_u32_u24_sdwa v101, v101, v47 dst_sel:DWORD dst_unused:UNUSED_PAD src0_sel:WORD_1 src1_sel:DWORD
	v_pk_fma_f16 v60, v65, v174, v60
	v_pk_fma_f16 v8, v65, v8, v61
	;; [unrolled: 1-line block ×31, first 2 shown]
	v_mul_u32_u24_sdwa v75, v102, v47 dst_sel:DWORD dst_unused:UNUSED_PAD src0_sel:WORD_0 src1_sel:DWORD
	v_mul_u32_u24_sdwa v76, v102, v47 dst_sel:DWORD dst_unused:UNUSED_PAD src0_sel:WORD_1 src1_sel:DWORD
	v_mul_u32_u24_sdwa v100, v103, v47 dst_sel:DWORD dst_unused:UNUSED_PAD src0_sel:WORD_0 src1_sel:DWORD
	v_mul_u32_u24_sdwa v102, v103, v47 dst_sel:DWORD dst_unused:UNUSED_PAD src0_sel:WORD_1 src1_sel:DWORD
	v_pk_fma_f16 v60, v77, v172, v60
	v_pk_fma_f16 v8, v77, v101, v8
	;; [unrolled: 1-line block ×13, first 2 shown]
	v_mul_u32_u24_sdwa v89, v105, v47 dst_sel:DWORD dst_unused:UNUSED_PAD src0_sel:WORD_1 src1_sel:DWORD
	v_pk_fma_f16 v64, v77, v173, v64
	v_pk_fma_f16 v61, v83, v75, v61
	;; [unrolled: 1-line block ×17, first 2 shown]
	v_mul_u32_u24_sdwa v75, v104, v47 dst_sel:DWORD dst_unused:UNUSED_PAD src0_sel:WORD_0 src1_sel:DWORD
	v_mul_u32_u24_sdwa v76, v104, v47 dst_sel:DWORD dst_unused:UNUSED_PAD src0_sel:WORD_1 src1_sel:DWORD
	v_pk_fma_f16 v8, v91, v102, v8
	v_pk_fma_f16 v54, v92, v89, v54
	;; [unrolled: 1-line block ×5, first 2 shown]
	v_mul_u32_u24_sdwa v90, v107, v47 dst_sel:DWORD dst_unused:UNUSED_PAD src0_sel:WORD_1 src1_sel:DWORD
	v_pk_fma_f16 v77, v83, v100, v174
	v_pk_fma_f16 v83, v85, v100, v175
	v_pk_fma_f16 v85, v88, v100, v177
	v_pk_fma_f16 v64, v91, v100, v64
	v_mul_u32_u24_sdwa v88, v105, v47 dst_sel:DWORD dst_unused:UNUSED_PAD src0_sel:WORD_0 src1_sel:DWORD
	v_pk_fma_f16 v61, v92, v75, v61
	v_pk_fma_f16 v65, v92, v76, v65
	v_pk_fma_f16 v66, v93, v75, v66
	v_pk_fma_f16 v71, v93, v76, v71
	v_pk_fma_f16 v67, v94, v75, v67
	v_pk_fma_f16 v79, v94, v76, v79
	v_pk_fma_f16 v68, v95, v75, v68
	v_pk_fma_f16 v70, v95, v76, v70
	v_pk_fma_f16 v69, v96, v75, v69
	v_pk_fma_f16 v84, v96, v76, v84
	v_pk_fma_f16 v62, v96, v89, v62
	v_pk_fma_f16 v74, v97, v75, v74
	v_pk_fma_f16 v78, v97, v76, v78
	v_pk_fma_f16 v63, v97, v89, v63
	v_pk_fma_f16 v5, v98, v75, v5
	v_pk_fma_f16 v6, v98, v76, v6
	v_pk_fma_f16 v59, v98, v89, v59
	v_pk_fma_f16 v60, v99, v75, v60
	v_pk_fma_f16 v7, v99, v76, v7
	v_mul_u32_u24_sdwa v75, v106, v47 dst_sel:DWORD dst_unused:UNUSED_PAD src0_sel:WORD_0 src1_sel:DWORD
	v_mul_u32_u24_sdwa v76, v106, v47 dst_sel:DWORD dst_unused:UNUSED_PAD src0_sel:WORD_1 src1_sel:DWORD
	v_pk_fma_f16 v8, v99, v89, v8
	v_pk_fma_f16 v54, v108, v90, v54
	v_pk_fma_f16 v55, v109, v90, v55
	v_pk_fma_f16 v56, v110, v90, v56
	v_pk_fma_f16 v57, v111, v90, v57
	v_mul_u32_u24_sdwa v89, v141, v47 dst_sel:DWORD dst_unused:UNUSED_PAD src0_sel:WORD_1 src1_sel:DWORD
	v_pk_fma_f16 v77, v92, v88, v77
	v_pk_fma_f16 v72, v93, v88, v72
	v_pk_fma_f16 v83, v94, v88, v83
	v_pk_fma_f16 v80, v95, v88, v80
	v_pk_fma_f16 v85, v96, v88, v85
	v_pk_fma_f16 v86, v97, v88, v86
	v_pk_fma_f16 v58, v98, v88, v58
	v_pk_fma_f16 v64, v99, v88, v64
	v_mul_u32_u24_sdwa v88, v107, v47 dst_sel:DWORD dst_unused:UNUSED_PAD src0_sel:WORD_0 src1_sel:DWORD
	v_pk_fma_f16 v61, v108, v75, v61
	v_pk_fma_f16 v65, v108, v76, v65
	v_pk_fma_f16 v66, v109, v75, v66
	v_pk_fma_f16 v71, v109, v76, v71
	v_pk_fma_f16 v67, v110, v75, v67
	v_pk_fma_f16 v79, v110, v76, v79
	v_pk_fma_f16 v68, v111, v75, v68
	v_pk_fma_f16 v70, v111, v76, v70
	v_pk_fma_f16 v69, v112, v75, v69
	v_pk_fma_f16 v84, v112, v76, v84
	v_pk_fma_f16 v62, v112, v90, v62
	v_pk_fma_f16 v74, v113, v75, v74
	v_pk_fma_f16 v78, v113, v76, v78
	v_pk_fma_f16 v63, v113, v90, v63
	v_pk_fma_f16 v5, v114, v75, v5
	v_pk_fma_f16 v6, v114, v76, v6
	v_pk_fma_f16 v59, v114, v90, v59
	v_pk_fma_f16 v60, v115, v75, v60
	v_pk_fma_f16 v7, v115, v76, v7
	v_mul_u32_u24_sdwa v75, v140, v47 dst_sel:DWORD dst_unused:UNUSED_PAD src0_sel:WORD_0 src1_sel:DWORD
	v_mul_u32_u24_sdwa v76, v140, v47 dst_sel:DWORD dst_unused:UNUSED_PAD src0_sel:WORD_1 src1_sel:DWORD
	v_pk_fma_f16 v8, v115, v90, v8
	v_pk_fma_f16 v54, v116, v89, v54
	v_pk_fma_f16 v55, v117, v89, v55
	v_pk_fma_f16 v56, v118, v89, v56
	v_pk_fma_f16 v57, v119, v89, v57
	v_mul_u32_u24_sdwa v90, v143, v47 dst_sel:DWORD dst_unused:UNUSED_PAD src0_sel:WORD_1 src1_sel:DWORD
	v_pk_fma_f16 v77, v108, v88, v77
	v_pk_fma_f16 v72, v109, v88, v72
	v_pk_fma_f16 v83, v110, v88, v83
	v_pk_fma_f16 v80, v111, v88, v80
	;; [unrolled: 36-line block ×3, first 2 shown]
	v_pk_fma_f16 v85, v120, v88, v85
	v_pk_fma_f16 v86, v121, v88, v86
	v_pk_fma_f16 v58, v122, v88, v58
	v_pk_fma_f16 v64, v123, v88, v64
	v_mul_u32_u24_sdwa v88, v143, v47 dst_sel:DWORD dst_unused:UNUSED_PAD src0_sel:WORD_0 src1_sel:DWORD
	v_pk_fma_f16 v61, v124, v75, v61
	v_pk_fma_f16 v65, v124, v76, v65
	;; [unrolled: 1-line block ×16, first 2 shown]
	v_mul_u32_u24_sdwa v75, v144, v47 dst_sel:DWORD dst_unused:UNUSED_PAD src0_sel:WORD_0 src1_sel:DWORD
	v_mul_u32_u24_sdwa v76, v144, v47 dst_sel:DWORD dst_unused:UNUSED_PAD src0_sel:WORD_1 src1_sel:DWORD
	v_pk_fma_f16 v54, v132, v89, v54
	v_pk_fma_f16 v55, v133, v89, v55
	v_pk_fma_f16 v56, v134, v89, v56
	v_pk_fma_f16 v57, v135, v89, v57
	v_mul_u32_u24_sdwa v93, v147, v47 dst_sel:DWORD dst_unused:UNUSED_PAD src0_sel:WORD_1 src1_sel:DWORD
	v_pk_fma_f16 v77, v124, v88, v77
	v_pk_fma_f16 v72, v125, v88, v72
	;; [unrolled: 1-line block ×11, first 2 shown]
	v_mul_u32_u24_sdwa v88, v145, v47 dst_sel:DWORD dst_unused:UNUSED_PAD src0_sel:WORD_0 src1_sel:DWORD
	v_pk_fma_f16 v8, v131, v90, v8
	v_pk_fma_f16 v61, v132, v75, v61
	;; [unrolled: 1-line block ×10, first 2 shown]
	v_mul_u32_u24_sdwa v76, v146, v47 dst_sel:DWORD dst_unused:UNUSED_PAD src0_sel:WORD_0 src1_sel:DWORD
	v_pk_fma_f16 v96, v148, v93, v54
	v_pk_fma_f16 v98, v149, v93, v55
	;; [unrolled: 1-line block ×4, first 2 shown]
	s_waitcnt vmcnt(3)
	ds_write_b128 v42, v[156:159]
	s_waitcnt vmcnt(2)
	ds_write_b128 v43, v[160:163]
	;; [unrolled: 2-line block ×4, first 2 shown]
	s_waitcnt lgkmcnt(0)
	s_barrier
	buffer_gl0_inv
	ds_read_b128 v[54:57], v41 offset:384
	v_pk_fma_f16 v66, v133, v75, v66
	v_pk_fma_f16 v67, v134, v75, v67
	;; [unrolled: 1-line block ×13, first 2 shown]
	ds_read2_b64 v[58:61], v82 offset1:32
	v_pk_fma_f16 v77, v132, v88, v77
	v_pk_fma_f16 v72, v133, v88, v72
	;; [unrolled: 1-line block ×7, first 2 shown]
	v_mul_u32_u24_sdwa v88, v146, v47 dst_sel:DWORD dst_unused:UNUSED_PAD src0_sel:WORD_1 src1_sel:DWORD
	v_mul_u32_u24_sdwa v92, v147, v47 dst_sel:DWORD dst_unused:UNUSED_PAD src0_sel:WORD_0 src1_sel:DWORD
	v_pk_fma_f16 v97, v149, v76, v66
	v_pk_fma_f16 v99, v150, v76, v67
	;; [unrolled: 1-line block ×11, first 2 shown]
	s_waitcnt lgkmcnt(1)
	v_mul_u32_u24_sdwa v110, v54, v47 dst_sel:DWORD dst_unused:UNUSED_PAD src0_sel:WORD_0 src1_sel:DWORD
	v_mul_u32_u24_sdwa v54, v54, v47 dst_sel:DWORD dst_unused:UNUSED_PAD src0_sel:WORD_1 src1_sel:DWORD
	v_mul_u32_u24_sdwa v111, v55, v47 dst_sel:DWORD dst_unused:UNUSED_PAD src0_sel:WORD_0 src1_sel:DWORD
	v_mul_u32_u24_sdwa v55, v55, v47 dst_sel:DWORD dst_unused:UNUSED_PAD src0_sel:WORD_1 src1_sel:DWORD
	v_pk_fma_f16 v103, v152, v76, v69
	v_pk_fma_f16 v85, v152, v92, v85
	;; [unrolled: 1-line block ×7, first 2 shown]
	ds_read2_b64 v[62:65], v82 offset0:64 offset1:96
	ds_read_b128 v[66:69], v41 offset:400
	v_pk_fma_f16 v84, v152, v88, v84
	v_pk_fma_f16 v105, v153, v76, v74
	;; [unrolled: 1-line block ×9, first 2 shown]
	ds_read_b128 v[74:77], v41 offset:416
	ds_read_b128 v[5:8], v41 offset:432
	s_waitcnt lgkmcnt(4)
	v_pk_fma_f16 v89, v58, v110, v89
	v_pk_fma_f16 v94, v58, v54, v94
	v_pk_fma_f16 v95, v58, v111, v95
	v_pk_fma_f16 v96, v58, v55, v96
	v_pk_fma_f16 v97, v59, v110, v97
	v_pk_fma_f16 v71, v59, v54, v71
	v_pk_fma_f16 v72, v59, v111, v72
	v_pk_fma_f16 v98, v59, v55, v98
	v_pk_fma_f16 v99, v60, v110, v99
	v_pk_fma_f16 v79, v60, v54, v79
	v_pk_fma_f16 v112, v60, v111, v83
	v_pk_fma_f16 v100, v60, v55, v100
	v_pk_fma_f16 v101, v61, v110, v101
	v_pk_fma_f16 v70, v61, v54, v70
	v_pk_fma_f16 v80, v61, v111, v80
	v_pk_fma_f16 v102, v61, v55, v102
	ds_read2_b64 v[58:61], v82 offset0:128 offset1:160
	s_waitcnt lgkmcnt(4)
	v_pk_fma_f16 v103, v62, v110, v103
	v_pk_fma_f16 v113, v62, v54, v84
	;; [unrolled: 1-line block ×14, first 2 shown]
	ds_read2_b64 v[83:86], v82 offset0:192 offset1:224
	v_mul_u32_u24_sdwa v108, v56, v47 dst_sel:DWORD dst_unused:UNUSED_PAD src0_sel:WORD_0 src1_sel:DWORD
	v_mul_u32_u24_sdwa v109, v56, v47 dst_sel:DWORD dst_unused:UNUSED_PAD src0_sel:WORD_1 src1_sel:DWORD
	v_mul_u32_u24_sdwa v110, v57, v47 dst_sel:DWORD dst_unused:UNUSED_PAD src0_sel:WORD_0 src1_sel:DWORD
	v_mul_u32_u24_sdwa v111, v57, v47 dst_sel:DWORD dst_unused:UNUSED_PAD src0_sel:WORD_1 src1_sel:DWORD
	v_pk_fma_f16 v88, v65, v54, v88
	v_pk_fma_f16 v65, v65, v55, v93
	s_waitcnt lgkmcnt(1)
	v_pk_fma_f16 v89, v58, v108, v89
	v_pk_fma_f16 v93, v58, v109, v94
	;; [unrolled: 1-line block ×16, first 2 shown]
	ds_read2_b64 v[54:57], v81 offset1:32
	ds_read2_b64 v[58:61], v81 offset0:64 offset1:96
	s_waitcnt lgkmcnt(2)
	v_pk_fma_f16 v103, v83, v108, v103
	v_pk_fma_f16 v112, v83, v109, v113
	;; [unrolled: 1-line block ×14, first 2 shown]
	v_mul_u32_u24_sdwa v92, v66, v47 dst_sel:DWORD dst_unused:UNUSED_PAD src0_sel:WORD_0 src1_sel:DWORD
	v_mul_u32_u24_sdwa v66, v66, v47 dst_sel:DWORD dst_unused:UNUSED_PAD src0_sel:WORD_1 src1_sel:DWORD
	v_mul_u32_u24_sdwa v106, v67, v47 dst_sel:DWORD dst_unused:UNUSED_PAD src0_sel:WORD_0 src1_sel:DWORD
	v_mul_u32_u24_sdwa v67, v67, v47 dst_sel:DWORD dst_unused:UNUSED_PAD src0_sel:WORD_1 src1_sel:DWORD
	v_pk_fma_f16 v88, v86, v109, v88
	v_pk_fma_f16 v86, v86, v111, v65
	s_waitcnt lgkmcnt(1)
	v_pk_fma_f16 v89, v54, v92, v89
	v_pk_fma_f16 v93, v54, v66, v93
	;; [unrolled: 1-line block ×16, first 2 shown]
	s_waitcnt lgkmcnt(0)
	v_pk_fma_f16 v103, v58, v92, v103
	v_pk_fma_f16 v107, v58, v66, v112
	ds_read2_b64 v[54:57], v81 offset0:128 offset1:160
	v_pk_fma_f16 v108, v58, v106, v113
	v_pk_fma_f16 v58, v58, v67, v62
	;; [unrolled: 1-line block ×10, first 2 shown]
	ds_read2_b64 v[62:65], v81 offset0:192 offset1:224
	v_pk_fma_f16 v85, v61, v92, v85
	v_pk_fma_f16 v66, v61, v66, v88
	;; [unrolled: 1-line block ×3, first 2 shown]
	v_mul_u32_u24_sdwa v91, v68, v47 dst_sel:DWORD dst_unused:UNUSED_PAD src0_sel:WORD_0 src1_sel:DWORD
	v_mul_u32_u24_sdwa v68, v68, v47 dst_sel:DWORD dst_unused:UNUSED_PAD src0_sel:WORD_1 src1_sel:DWORD
	v_mul_u32_u24_sdwa v92, v69, v47 dst_sel:DWORD dst_unused:UNUSED_PAD src0_sel:WORD_0 src1_sel:DWORD
	v_mul_u32_u24_sdwa v69, v69, v47 dst_sel:DWORD dst_unused:UNUSED_PAD src0_sel:WORD_1 src1_sel:DWORD
	v_pk_fma_f16 v67, v61, v67, v86
	s_waitcnt lgkmcnt(1)
	v_pk_fma_f16 v86, v54, v91, v89
	v_pk_fma_f16 v89, v54, v68, v93
	;; [unrolled: 1-line block ×16, first 2 shown]
	s_waitcnt lgkmcnt(0)
	v_pk_fma_f16 v102, v62, v91, v103
	v_pk_fma_f16 v103, v62, v68, v107
	ds_read2_b64 v[54:57], v52 offset1:32
	v_pk_fma_f16 v106, v62, v92, v108
	v_pk_fma_f16 v62, v62, v69, v58
	;; [unrolled: 1-line block ×10, first 2 shown]
	ds_read2_b64 v[58:61], v52 offset0:64 offset1:96
	v_pk_fma_f16 v85, v65, v91, v85
	v_pk_fma_f16 v66, v65, v68, v66
	;; [unrolled: 1-line block ×3, first 2 shown]
	v_mul_u32_u24_sdwa v88, v74, v47 dst_sel:DWORD dst_unused:UNUSED_PAD src0_sel:WORD_0 src1_sel:DWORD
	v_mul_u32_u24_sdwa v74, v74, v47 dst_sel:DWORD dst_unused:UNUSED_PAD src0_sel:WORD_1 src1_sel:DWORD
	v_mul_u32_u24_sdwa v91, v75, v47 dst_sel:DWORD dst_unused:UNUSED_PAD src0_sel:WORD_0 src1_sel:DWORD
	v_mul_u32_u24_sdwa v75, v75, v47 dst_sel:DWORD dst_unused:UNUSED_PAD src0_sel:WORD_1 src1_sel:DWORD
	v_pk_fma_f16 v67, v65, v69, v67
	s_waitcnt lgkmcnt(1)
	v_pk_fma_f16 v69, v54, v88, v86
	v_pk_fma_f16 v86, v54, v74, v89
	;; [unrolled: 1-line block ×16, first 2 shown]
	s_waitcnt lgkmcnt(0)
	v_pk_fma_f16 v100, v58, v88, v102
	v_pk_fma_f16 v101, v58, v74, v103
	ds_read2_b64 v[54:57], v52 offset0:128 offset1:160
	v_pk_fma_f16 v102, v58, v91, v106
	v_pk_fma_f16 v58, v58, v75, v62
	;; [unrolled: 1-line block ×10, first 2 shown]
	ds_read2_b64 v[62:65], v52 offset0:192 offset1:224
	v_pk_fma_f16 v85, v61, v88, v85
	v_pk_fma_f16 v66, v61, v74, v66
	v_mul_u32_u24_sdwa v74, v76, v47 dst_sel:DWORD dst_unused:UNUSED_PAD src0_sel:WORD_0 src1_sel:DWORD
	v_mul_u32_u24_sdwa v76, v76, v47 dst_sel:DWORD dst_unused:UNUSED_PAD src0_sel:WORD_1 src1_sel:DWORD
	v_mul_u32_u24_sdwa v88, v77, v47 dst_sel:DWORD dst_unused:UNUSED_PAD src0_sel:WORD_0 src1_sel:DWORD
	v_mul_u32_u24_sdwa v77, v77, v47 dst_sel:DWORD dst_unused:UNUSED_PAD src0_sel:WORD_1 src1_sel:DWORD
	v_pk_fma_f16 v68, v61, v91, v68
	v_pk_fma_f16 v67, v61, v75, v67
	s_waitcnt lgkmcnt(1)
	v_pk_fma_f16 v75, v54, v76, v86
	v_pk_fma_f16 v86, v54, v88, v89
	;; [unrolled: 1-line block ×11, first 2 shown]
	s_waitcnt lgkmcnt(0)
	v_pk_fma_f16 v98, v62, v74, v100
	v_pk_fma_f16 v99, v62, v76, v101
	;; [unrolled: 1-line block ×9, first 2 shown]
	ds_read2_b64 v[58:61], v53 offset0:64 offset1:96
	v_pk_fma_f16 v71, v55, v76, v71
	v_pk_fma_f16 v72, v55, v88, v72
	;; [unrolled: 1-line block ×5, first 2 shown]
	ds_read2_b64 v[54:57], v53 offset1:32
	s_or_b32 s0, s8, 64
	v_mul_u32_u24_sdwa v179, v5, v47 dst_sel:DWORD dst_unused:UNUSED_PAD src0_sel:WORD_0 src1_sel:DWORD
	s_mul_hi_i32 s19, s0, s9
	s_mul_i32 s18, s0, s9
	v_mul_u32_u24_sdwa v180, v5, v47 dst_sel:DWORD dst_unused:UNUSED_PAD src0_sel:WORD_1 src1_sel:DWORD
	s_lshl_b64 s[18:19], s[18:19], 2
	v_mul_u32_u24_sdwa v181, v6, v47 dst_sel:DWORD dst_unused:UNUSED_PAD src0_sel:WORD_0 src1_sel:DWORD
	v_mul_u32_u24_sdwa v182, v6, v47 dst_sel:DWORD dst_unused:UNUSED_PAD src0_sel:WORD_1 src1_sel:DWORD
	s_add_u32 s0, s12, s18
	s_addc_u32 s15, s13, s19
	v_add_co_u32 v5, vcc_lo, s0, v27
	v_add_co_ci_u32_e64 v6, null, s15, v28, vcc_lo
	s_waitcnt lgkmcnt(1)
	v_pk_fma_f16 v195, v58, v179, v98
	v_pk_fma_f16 v196, v58, v180, v99
	;; [unrolled: 1-line block ×4, first 2 shown]
	v_add_co_u32 v58, vcc_lo, s0, v29
	v_pk_fma_f16 v199, v59, v179, v83
	v_pk_fma_f16 v78, v59, v180, v78
	;; [unrolled: 1-line block ×4, first 2 shown]
	v_add_co_ci_u32_e64 v59, null, s15, v30, vcc_lo
	v_add_co_u32 v5, vcc_lo, v5, v87
	v_add_co_ci_u32_e64 v6, null, 0, v6, vcc_lo
	v_add_co_u32 v58, vcc_lo, v58, v87
	v_add_co_ci_u32_e64 v59, null, 0, v59, vcc_lo
	v_pk_fma_f16 v172, v64, v74, v84
	v_pk_fma_f16 v173, v64, v76, v104
	;; [unrolled: 1-line block ×7, first 2 shown]
	s_waitcnt lgkmcnt(0)
	v_pk_fma_f16 v184, v54, v179, v69
	v_pk_fma_f16 v185, v54, v180, v75
	;; [unrolled: 1-line block ×16, first 2 shown]
	ds_read2_b64 v[54:57], v53 offset0:128 offset1:160
	ds_read2_b64 v[62:65], v53 offset0:192 offset1:224
	ds_read2_b64 v[66:69], v51 offset1:32
	ds_read2_b64 v[74:77], v51 offset0:64 offset1:96
	ds_read2_b64 v[83:86], v51 offset0:128 offset1:160
	;; [unrolled: 1-line block ×3, first 2 shown]
	ds_read2_b64 v[92:95], v50 offset1:32
	ds_read2_b64 v[96:99], v50 offset0:64 offset1:96
	ds_read_b128 v[100:103], v41 offset:448
	ds_read_b128 v[104:107], v41 offset:464
	ds_read2_b64 v[108:111], v50 offset0:128 offset1:160
	ds_read2_b64 v[112:115], v50 offset0:192 offset1:224
	ds_read2_b64 v[116:119], v49 offset1:32
	ds_read2_b64 v[120:123], v49 offset0:64 offset1:96
	ds_read2_b64 v[124:127], v49 offset0:128 offset1:160
	;; [unrolled: 1-line block ×3, first 2 shown]
	ds_read2_b64 v[132:135], v48 offset1:32
	ds_read2_b64 v[136:139], v48 offset0:64 offset1:96
	ds_read_b128 v[140:143], v41 offset:480
	ds_read_b128 v[144:147], v41 offset:496
	ds_read2_b64 v[148:151], v48 offset0:128 offset1:160
	ds_read2_b64 v[152:155], v48 offset0:192 offset1:224
	s_waitcnt lgkmcnt(0)
	s_barrier
	buffer_gl0_inv
	s_clause 0x3
	global_load_dwordx4 v[156:159], v[5:6], off
	global_load_dwordx4 v[160:163], v[5:6], off offset:512
	global_load_dwordx4 v[164:167], v[58:59], off
	global_load_dwordx4 v[168:171], v[58:59], off offset:512
	v_pk_fma_f16 v5, v60, v179, v172
	v_pk_fma_f16 v6, v60, v180, v173
	v_pk_fma_f16 v58, v60, v181, v174
	v_pk_fma_f16 v59, v60, v182, v175
	v_pk_fma_f16 v172, v61, v180, v177
	v_pk_fma_f16 v173, v61, v181, v178
	v_mul_u32_u24_sdwa v174, v7, v47 dst_sel:DWORD dst_unused:UNUSED_PAD src0_sel:WORD_0 src1_sel:DWORD
	v_mul_u32_u24_sdwa v7, v7, v47 dst_sel:DWORD dst_unused:UNUSED_PAD src0_sel:WORD_1 src1_sel:DWORD
	v_mul_u32_u24_sdwa v175, v8, v47 dst_sel:DWORD dst_unused:UNUSED_PAD src0_sel:WORD_0 src1_sel:DWORD
	v_mul_u32_u24_sdwa v8, v8, v47 dst_sel:DWORD dst_unused:UNUSED_PAD src0_sel:WORD_1 src1_sel:DWORD
	v_pk_fma_f16 v60, v61, v179, v176
	v_pk_fma_f16 v61, v61, v182, v183
	;; [unrolled: 1-line block ×32, first 2 shown]
	v_mul_u32_u24_sdwa v172, v100, v47 dst_sel:DWORD dst_unused:UNUSED_PAD src0_sel:WORD_0 src1_sel:DWORD
	v_mul_u32_u24_sdwa v100, v100, v47 dst_sel:DWORD dst_unused:UNUSED_PAD src0_sel:WORD_1 src1_sel:DWORD
	v_mul_u32_u24_sdwa v173, v101, v47 dst_sel:DWORD dst_unused:UNUSED_PAD src0_sel:WORD_0 src1_sel:DWORD
	v_mul_u32_u24_sdwa v101, v101, v47 dst_sel:DWORD dst_unused:UNUSED_PAD src0_sel:WORD_1 src1_sel:DWORD
	v_pk_fma_f16 v60, v65, v174, v60
	v_pk_fma_f16 v8, v65, v8, v61
	;; [unrolled: 1-line block ×31, first 2 shown]
	v_mul_u32_u24_sdwa v75, v102, v47 dst_sel:DWORD dst_unused:UNUSED_PAD src0_sel:WORD_0 src1_sel:DWORD
	v_mul_u32_u24_sdwa v76, v102, v47 dst_sel:DWORD dst_unused:UNUSED_PAD src0_sel:WORD_1 src1_sel:DWORD
	v_mul_u32_u24_sdwa v100, v103, v47 dst_sel:DWORD dst_unused:UNUSED_PAD src0_sel:WORD_0 src1_sel:DWORD
	v_mul_u32_u24_sdwa v102, v103, v47 dst_sel:DWORD dst_unused:UNUSED_PAD src0_sel:WORD_1 src1_sel:DWORD
	v_pk_fma_f16 v60, v77, v172, v60
	v_pk_fma_f16 v8, v77, v101, v8
	;; [unrolled: 1-line block ×13, first 2 shown]
	v_mul_u32_u24_sdwa v89, v105, v47 dst_sel:DWORD dst_unused:UNUSED_PAD src0_sel:WORD_1 src1_sel:DWORD
	v_pk_fma_f16 v64, v77, v173, v64
	v_pk_fma_f16 v61, v83, v75, v61
	;; [unrolled: 1-line block ×17, first 2 shown]
	v_mul_u32_u24_sdwa v75, v104, v47 dst_sel:DWORD dst_unused:UNUSED_PAD src0_sel:WORD_0 src1_sel:DWORD
	v_mul_u32_u24_sdwa v76, v104, v47 dst_sel:DWORD dst_unused:UNUSED_PAD src0_sel:WORD_1 src1_sel:DWORD
	v_pk_fma_f16 v8, v91, v102, v8
	v_pk_fma_f16 v54, v92, v89, v54
	;; [unrolled: 1-line block ×5, first 2 shown]
	v_mul_u32_u24_sdwa v90, v107, v47 dst_sel:DWORD dst_unused:UNUSED_PAD src0_sel:WORD_1 src1_sel:DWORD
	v_pk_fma_f16 v77, v83, v100, v174
	v_pk_fma_f16 v83, v85, v100, v175
	v_pk_fma_f16 v85, v88, v100, v177
	v_pk_fma_f16 v64, v91, v100, v64
	v_mul_u32_u24_sdwa v88, v105, v47 dst_sel:DWORD dst_unused:UNUSED_PAD src0_sel:WORD_0 src1_sel:DWORD
	v_pk_fma_f16 v61, v92, v75, v61
	v_pk_fma_f16 v65, v92, v76, v65
	v_pk_fma_f16 v66, v93, v75, v66
	v_pk_fma_f16 v71, v93, v76, v71
	v_pk_fma_f16 v67, v94, v75, v67
	v_pk_fma_f16 v79, v94, v76, v79
	v_pk_fma_f16 v68, v95, v75, v68
	v_pk_fma_f16 v70, v95, v76, v70
	v_pk_fma_f16 v69, v96, v75, v69
	v_pk_fma_f16 v84, v96, v76, v84
	v_pk_fma_f16 v62, v96, v89, v62
	v_pk_fma_f16 v74, v97, v75, v74
	v_pk_fma_f16 v78, v97, v76, v78
	v_pk_fma_f16 v63, v97, v89, v63
	v_pk_fma_f16 v5, v98, v75, v5
	v_pk_fma_f16 v6, v98, v76, v6
	v_pk_fma_f16 v59, v98, v89, v59
	v_pk_fma_f16 v60, v99, v75, v60
	v_pk_fma_f16 v7, v99, v76, v7
	v_mul_u32_u24_sdwa v75, v106, v47 dst_sel:DWORD dst_unused:UNUSED_PAD src0_sel:WORD_0 src1_sel:DWORD
	v_mul_u32_u24_sdwa v76, v106, v47 dst_sel:DWORD dst_unused:UNUSED_PAD src0_sel:WORD_1 src1_sel:DWORD
	v_pk_fma_f16 v8, v99, v89, v8
	v_pk_fma_f16 v54, v108, v90, v54
	v_pk_fma_f16 v55, v109, v90, v55
	v_pk_fma_f16 v56, v110, v90, v56
	v_pk_fma_f16 v57, v111, v90, v57
	v_mul_u32_u24_sdwa v89, v141, v47 dst_sel:DWORD dst_unused:UNUSED_PAD src0_sel:WORD_1 src1_sel:DWORD
	v_pk_fma_f16 v77, v92, v88, v77
	v_pk_fma_f16 v72, v93, v88, v72
	v_pk_fma_f16 v83, v94, v88, v83
	v_pk_fma_f16 v80, v95, v88, v80
	v_pk_fma_f16 v85, v96, v88, v85
	v_pk_fma_f16 v86, v97, v88, v86
	v_pk_fma_f16 v58, v98, v88, v58
	v_pk_fma_f16 v64, v99, v88, v64
	v_mul_u32_u24_sdwa v88, v107, v47 dst_sel:DWORD dst_unused:UNUSED_PAD src0_sel:WORD_0 src1_sel:DWORD
	v_pk_fma_f16 v61, v108, v75, v61
	v_pk_fma_f16 v65, v108, v76, v65
	v_pk_fma_f16 v66, v109, v75, v66
	v_pk_fma_f16 v71, v109, v76, v71
	v_pk_fma_f16 v67, v110, v75, v67
	v_pk_fma_f16 v79, v110, v76, v79
	v_pk_fma_f16 v68, v111, v75, v68
	v_pk_fma_f16 v70, v111, v76, v70
	v_pk_fma_f16 v69, v112, v75, v69
	v_pk_fma_f16 v84, v112, v76, v84
	v_pk_fma_f16 v62, v112, v90, v62
	v_pk_fma_f16 v74, v113, v75, v74
	v_pk_fma_f16 v78, v113, v76, v78
	v_pk_fma_f16 v63, v113, v90, v63
	v_pk_fma_f16 v5, v114, v75, v5
	v_pk_fma_f16 v6, v114, v76, v6
	v_pk_fma_f16 v59, v114, v90, v59
	v_pk_fma_f16 v60, v115, v75, v60
	v_pk_fma_f16 v7, v115, v76, v7
	v_mul_u32_u24_sdwa v75, v140, v47 dst_sel:DWORD dst_unused:UNUSED_PAD src0_sel:WORD_0 src1_sel:DWORD
	v_mul_u32_u24_sdwa v76, v140, v47 dst_sel:DWORD dst_unused:UNUSED_PAD src0_sel:WORD_1 src1_sel:DWORD
	v_pk_fma_f16 v8, v115, v90, v8
	v_pk_fma_f16 v54, v116, v89, v54
	v_pk_fma_f16 v55, v117, v89, v55
	v_pk_fma_f16 v56, v118, v89, v56
	v_pk_fma_f16 v57, v119, v89, v57
	v_mul_u32_u24_sdwa v90, v143, v47 dst_sel:DWORD dst_unused:UNUSED_PAD src0_sel:WORD_1 src1_sel:DWORD
	v_pk_fma_f16 v77, v108, v88, v77
	v_pk_fma_f16 v72, v109, v88, v72
	v_pk_fma_f16 v83, v110, v88, v83
	v_pk_fma_f16 v80, v111, v88, v80
	;; [unrolled: 36-line block ×3, first 2 shown]
	v_pk_fma_f16 v85, v120, v88, v85
	v_pk_fma_f16 v86, v121, v88, v86
	;; [unrolled: 1-line block ×4, first 2 shown]
	v_mul_u32_u24_sdwa v88, v143, v47 dst_sel:DWORD dst_unused:UNUSED_PAD src0_sel:WORD_0 src1_sel:DWORD
	v_pk_fma_f16 v61, v124, v75, v61
	v_pk_fma_f16 v65, v124, v76, v65
	;; [unrolled: 1-line block ×16, first 2 shown]
	v_mul_u32_u24_sdwa v75, v144, v47 dst_sel:DWORD dst_unused:UNUSED_PAD src0_sel:WORD_0 src1_sel:DWORD
	v_mul_u32_u24_sdwa v76, v144, v47 dst_sel:DWORD dst_unused:UNUSED_PAD src0_sel:WORD_1 src1_sel:DWORD
	v_pk_fma_f16 v54, v132, v89, v54
	v_pk_fma_f16 v55, v133, v89, v55
	;; [unrolled: 1-line block ×4, first 2 shown]
	v_mul_u32_u24_sdwa v93, v147, v47 dst_sel:DWORD dst_unused:UNUSED_PAD src0_sel:WORD_1 src1_sel:DWORD
	v_pk_fma_f16 v77, v124, v88, v77
	v_pk_fma_f16 v72, v125, v88, v72
	;; [unrolled: 1-line block ×11, first 2 shown]
	v_mul_u32_u24_sdwa v88, v145, v47 dst_sel:DWORD dst_unused:UNUSED_PAD src0_sel:WORD_0 src1_sel:DWORD
	v_pk_fma_f16 v8, v131, v90, v8
	v_pk_fma_f16 v61, v132, v75, v61
	v_pk_fma_f16 v65, v132, v76, v65
	v_pk_fma_f16 v71, v133, v76, v71
	v_pk_fma_f16 v79, v134, v76, v79
	v_pk_fma_f16 v70, v135, v76, v70
	v_pk_fma_f16 v84, v136, v76, v84
	v_pk_fma_f16 v78, v137, v76, v78
	v_pk_fma_f16 v6, v138, v76, v6
	v_pk_fma_f16 v7, v139, v76, v7
	v_mul_u32_u24_sdwa v76, v146, v47 dst_sel:DWORD dst_unused:UNUSED_PAD src0_sel:WORD_0 src1_sel:DWORD
	v_pk_fma_f16 v96, v148, v93, v54
	v_pk_fma_f16 v98, v149, v93, v55
	;; [unrolled: 1-line block ×4, first 2 shown]
	s_waitcnt vmcnt(3)
	ds_write_b128 v42, v[156:159]
	s_waitcnt vmcnt(2)
	ds_write_b128 v43, v[160:163]
	;; [unrolled: 2-line block ×4, first 2 shown]
	s_waitcnt lgkmcnt(0)
	s_barrier
	buffer_gl0_inv
	ds_read_b128 v[54:57], v41 offset:512
	v_pk_fma_f16 v66, v133, v75, v66
	v_pk_fma_f16 v67, v134, v75, v67
	;; [unrolled: 1-line block ×13, first 2 shown]
	ds_read2_b64 v[58:61], v82 offset1:32
	v_pk_fma_f16 v77, v132, v88, v77
	v_pk_fma_f16 v72, v133, v88, v72
	;; [unrolled: 1-line block ×7, first 2 shown]
	v_mul_u32_u24_sdwa v88, v146, v47 dst_sel:DWORD dst_unused:UNUSED_PAD src0_sel:WORD_1 src1_sel:DWORD
	v_mul_u32_u24_sdwa v92, v147, v47 dst_sel:DWORD dst_unused:UNUSED_PAD src0_sel:WORD_0 src1_sel:DWORD
	v_pk_fma_f16 v97, v149, v76, v66
	v_pk_fma_f16 v99, v150, v76, v67
	;; [unrolled: 1-line block ×11, first 2 shown]
	s_waitcnt lgkmcnt(1)
	v_mul_u32_u24_sdwa v110, v54, v47 dst_sel:DWORD dst_unused:UNUSED_PAD src0_sel:WORD_0 src1_sel:DWORD
	v_mul_u32_u24_sdwa v54, v54, v47 dst_sel:DWORD dst_unused:UNUSED_PAD src0_sel:WORD_1 src1_sel:DWORD
	v_mul_u32_u24_sdwa v111, v55, v47 dst_sel:DWORD dst_unused:UNUSED_PAD src0_sel:WORD_0 src1_sel:DWORD
	v_mul_u32_u24_sdwa v55, v55, v47 dst_sel:DWORD dst_unused:UNUSED_PAD src0_sel:WORD_1 src1_sel:DWORD
	v_pk_fma_f16 v103, v152, v76, v69
	v_pk_fma_f16 v85, v152, v92, v85
	;; [unrolled: 1-line block ×7, first 2 shown]
	ds_read2_b64 v[62:65], v82 offset0:64 offset1:96
	ds_read_b128 v[66:69], v41 offset:528
	v_pk_fma_f16 v84, v152, v88, v84
	v_pk_fma_f16 v105, v153, v76, v74
	;; [unrolled: 1-line block ×9, first 2 shown]
	ds_read_b128 v[74:77], v41 offset:544
	ds_read_b128 v[5:8], v41 offset:560
	s_waitcnt lgkmcnt(4)
	v_pk_fma_f16 v89, v58, v110, v89
	v_pk_fma_f16 v94, v58, v54, v94
	;; [unrolled: 1-line block ×16, first 2 shown]
	ds_read2_b64 v[58:61], v82 offset0:128 offset1:160
	s_waitcnt lgkmcnt(4)
	v_pk_fma_f16 v103, v62, v110, v103
	v_pk_fma_f16 v113, v62, v54, v84
	;; [unrolled: 1-line block ×14, first 2 shown]
	ds_read2_b64 v[83:86], v82 offset0:192 offset1:224
	v_mul_u32_u24_sdwa v108, v56, v47 dst_sel:DWORD dst_unused:UNUSED_PAD src0_sel:WORD_0 src1_sel:DWORD
	v_mul_u32_u24_sdwa v109, v56, v47 dst_sel:DWORD dst_unused:UNUSED_PAD src0_sel:WORD_1 src1_sel:DWORD
	v_mul_u32_u24_sdwa v110, v57, v47 dst_sel:DWORD dst_unused:UNUSED_PAD src0_sel:WORD_0 src1_sel:DWORD
	v_mul_u32_u24_sdwa v111, v57, v47 dst_sel:DWORD dst_unused:UNUSED_PAD src0_sel:WORD_1 src1_sel:DWORD
	v_pk_fma_f16 v88, v65, v54, v88
	v_pk_fma_f16 v65, v65, v55, v93
	s_waitcnt lgkmcnt(1)
	v_pk_fma_f16 v89, v58, v108, v89
	v_pk_fma_f16 v93, v58, v109, v94
	;; [unrolled: 1-line block ×16, first 2 shown]
	ds_read2_b64 v[54:57], v81 offset1:32
	ds_read2_b64 v[58:61], v81 offset0:64 offset1:96
	s_waitcnt lgkmcnt(2)
	v_pk_fma_f16 v103, v83, v108, v103
	v_pk_fma_f16 v112, v83, v109, v113
	;; [unrolled: 1-line block ×14, first 2 shown]
	v_mul_u32_u24_sdwa v92, v66, v47 dst_sel:DWORD dst_unused:UNUSED_PAD src0_sel:WORD_0 src1_sel:DWORD
	v_mul_u32_u24_sdwa v66, v66, v47 dst_sel:DWORD dst_unused:UNUSED_PAD src0_sel:WORD_1 src1_sel:DWORD
	v_mul_u32_u24_sdwa v106, v67, v47 dst_sel:DWORD dst_unused:UNUSED_PAD src0_sel:WORD_0 src1_sel:DWORD
	v_mul_u32_u24_sdwa v67, v67, v47 dst_sel:DWORD dst_unused:UNUSED_PAD src0_sel:WORD_1 src1_sel:DWORD
	v_pk_fma_f16 v88, v86, v109, v88
	v_pk_fma_f16 v86, v86, v111, v65
	s_waitcnt lgkmcnt(1)
	v_pk_fma_f16 v89, v54, v92, v89
	v_pk_fma_f16 v93, v54, v66, v93
	;; [unrolled: 1-line block ×16, first 2 shown]
	s_waitcnt lgkmcnt(0)
	v_pk_fma_f16 v103, v58, v92, v103
	v_pk_fma_f16 v107, v58, v66, v112
	ds_read2_b64 v[54:57], v81 offset0:128 offset1:160
	v_pk_fma_f16 v108, v58, v106, v113
	v_pk_fma_f16 v58, v58, v67, v62
	;; [unrolled: 1-line block ×10, first 2 shown]
	ds_read2_b64 v[62:65], v81 offset0:192 offset1:224
	v_pk_fma_f16 v85, v61, v92, v85
	v_pk_fma_f16 v66, v61, v66, v88
	;; [unrolled: 1-line block ×3, first 2 shown]
	v_mul_u32_u24_sdwa v91, v68, v47 dst_sel:DWORD dst_unused:UNUSED_PAD src0_sel:WORD_0 src1_sel:DWORD
	v_mul_u32_u24_sdwa v68, v68, v47 dst_sel:DWORD dst_unused:UNUSED_PAD src0_sel:WORD_1 src1_sel:DWORD
	v_mul_u32_u24_sdwa v92, v69, v47 dst_sel:DWORD dst_unused:UNUSED_PAD src0_sel:WORD_0 src1_sel:DWORD
	v_mul_u32_u24_sdwa v69, v69, v47 dst_sel:DWORD dst_unused:UNUSED_PAD src0_sel:WORD_1 src1_sel:DWORD
	v_pk_fma_f16 v67, v61, v67, v86
	s_waitcnt lgkmcnt(1)
	v_pk_fma_f16 v86, v54, v91, v89
	v_pk_fma_f16 v89, v54, v68, v93
	v_pk_fma_f16 v93, v54, v92, v94
	v_pk_fma_f16 v94, v54, v69, v95
	v_pk_fma_f16 v95, v55, v91, v96
	v_pk_fma_f16 v71, v55, v68, v71
	v_pk_fma_f16 v72, v55, v92, v72
	v_pk_fma_f16 v96, v55, v69, v97
	v_pk_fma_f16 v97, v56, v91, v98
	v_pk_fma_f16 v79, v56, v68, v79
	v_pk_fma_f16 v98, v56, v92, v99
	v_pk_fma_f16 v99, v56, v69, v100
	v_pk_fma_f16 v100, v57, v91, v101
	v_pk_fma_f16 v70, v57, v68, v70
	v_pk_fma_f16 v80, v57, v92, v80
	v_pk_fma_f16 v101, v57, v69, v102
	s_waitcnt lgkmcnt(0)
	v_pk_fma_f16 v102, v62, v91, v103
	v_pk_fma_f16 v103, v62, v68, v107
	ds_read2_b64 v[54:57], v52 offset1:32
	v_pk_fma_f16 v106, v62, v92, v108
	v_pk_fma_f16 v62, v62, v69, v58
	;; [unrolled: 1-line block ×10, first 2 shown]
	ds_read2_b64 v[58:61], v52 offset0:64 offset1:96
	v_pk_fma_f16 v85, v65, v91, v85
	v_pk_fma_f16 v66, v65, v68, v66
	;; [unrolled: 1-line block ×3, first 2 shown]
	v_mul_u32_u24_sdwa v88, v74, v47 dst_sel:DWORD dst_unused:UNUSED_PAD src0_sel:WORD_0 src1_sel:DWORD
	v_mul_u32_u24_sdwa v74, v74, v47 dst_sel:DWORD dst_unused:UNUSED_PAD src0_sel:WORD_1 src1_sel:DWORD
	v_mul_u32_u24_sdwa v91, v75, v47 dst_sel:DWORD dst_unused:UNUSED_PAD src0_sel:WORD_0 src1_sel:DWORD
	v_mul_u32_u24_sdwa v75, v75, v47 dst_sel:DWORD dst_unused:UNUSED_PAD src0_sel:WORD_1 src1_sel:DWORD
	v_pk_fma_f16 v67, v65, v69, v67
	s_waitcnt lgkmcnt(1)
	v_pk_fma_f16 v69, v54, v88, v86
	v_pk_fma_f16 v86, v54, v74, v89
	;; [unrolled: 1-line block ×16, first 2 shown]
	s_waitcnt lgkmcnt(0)
	v_pk_fma_f16 v100, v58, v88, v102
	v_pk_fma_f16 v101, v58, v74, v103
	ds_read2_b64 v[54:57], v52 offset0:128 offset1:160
	v_pk_fma_f16 v102, v58, v91, v106
	v_pk_fma_f16 v58, v58, v75, v62
	;; [unrolled: 1-line block ×10, first 2 shown]
	ds_read2_b64 v[62:65], v52 offset0:192 offset1:224
	v_pk_fma_f16 v85, v61, v88, v85
	v_pk_fma_f16 v66, v61, v74, v66
	v_mul_u32_u24_sdwa v74, v76, v47 dst_sel:DWORD dst_unused:UNUSED_PAD src0_sel:WORD_0 src1_sel:DWORD
	v_mul_u32_u24_sdwa v76, v76, v47 dst_sel:DWORD dst_unused:UNUSED_PAD src0_sel:WORD_1 src1_sel:DWORD
	v_mul_u32_u24_sdwa v88, v77, v47 dst_sel:DWORD dst_unused:UNUSED_PAD src0_sel:WORD_0 src1_sel:DWORD
	v_mul_u32_u24_sdwa v77, v77, v47 dst_sel:DWORD dst_unused:UNUSED_PAD src0_sel:WORD_1 src1_sel:DWORD
	v_pk_fma_f16 v68, v61, v91, v68
	v_pk_fma_f16 v67, v61, v75, v67
	s_waitcnt lgkmcnt(1)
	v_pk_fma_f16 v75, v54, v76, v86
	v_pk_fma_f16 v86, v54, v88, v89
	v_pk_fma_f16 v89, v54, v77, v92
	v_pk_fma_f16 v91, v55, v74, v93
	v_pk_fma_f16 v92, v55, v77, v94
	v_pk_fma_f16 v93, v56, v74, v95
	v_pk_fma_f16 v94, v56, v88, v96
	v_pk_fma_f16 v95, v56, v77, v97
	v_pk_fma_f16 v96, v57, v74, v98
	v_pk_fma_f16 v97, v57, v77, v99
	v_pk_fma_f16 v69, v54, v74, v69
	s_waitcnt lgkmcnt(0)
	v_pk_fma_f16 v98, v62, v74, v100
	v_pk_fma_f16 v99, v62, v76, v101
	;; [unrolled: 1-line block ×9, first 2 shown]
	ds_read2_b64 v[58:61], v53 offset0:64 offset1:96
	v_pk_fma_f16 v71, v55, v76, v71
	v_pk_fma_f16 v72, v55, v88, v72
	;; [unrolled: 1-line block ×5, first 2 shown]
	ds_read2_b64 v[54:57], v53 offset1:32
	s_or_b32 s0, s8, 0x50
	v_mul_u32_u24_sdwa v179, v5, v47 dst_sel:DWORD dst_unused:UNUSED_PAD src0_sel:WORD_0 src1_sel:DWORD
	s_mul_hi_i32 s19, s0, s9
	s_mul_i32 s18, s0, s9
	v_mul_u32_u24_sdwa v180, v5, v47 dst_sel:DWORD dst_unused:UNUSED_PAD src0_sel:WORD_1 src1_sel:DWORD
	s_lshl_b64 s[18:19], s[18:19], 2
	v_mul_u32_u24_sdwa v181, v6, v47 dst_sel:DWORD dst_unused:UNUSED_PAD src0_sel:WORD_0 src1_sel:DWORD
	v_mul_u32_u24_sdwa v182, v6, v47 dst_sel:DWORD dst_unused:UNUSED_PAD src0_sel:WORD_1 src1_sel:DWORD
	s_add_u32 s0, s12, s18
	s_addc_u32 s15, s13, s19
	v_add_co_u32 v5, vcc_lo, s0, v27
	v_add_co_ci_u32_e64 v6, null, s15, v28, vcc_lo
	s_waitcnt lgkmcnt(1)
	v_pk_fma_f16 v195, v58, v179, v98
	v_pk_fma_f16 v196, v58, v180, v99
	;; [unrolled: 1-line block ×4, first 2 shown]
	v_add_co_u32 v58, vcc_lo, s0, v29
	v_pk_fma_f16 v199, v59, v179, v83
	v_pk_fma_f16 v78, v59, v180, v78
	;; [unrolled: 1-line block ×4, first 2 shown]
	v_add_co_ci_u32_e64 v59, null, s15, v30, vcc_lo
	v_add_co_u32 v5, vcc_lo, v5, v87
	v_add_co_ci_u32_e64 v6, null, 0, v6, vcc_lo
	v_add_co_u32 v58, vcc_lo, v58, v87
	v_add_co_ci_u32_e64 v59, null, 0, v59, vcc_lo
	v_pk_fma_f16 v172, v64, v74, v84
	v_pk_fma_f16 v173, v64, v76, v104
	;; [unrolled: 1-line block ×7, first 2 shown]
	s_waitcnt lgkmcnt(0)
	v_pk_fma_f16 v184, v54, v179, v69
	v_pk_fma_f16 v185, v54, v180, v75
	;; [unrolled: 1-line block ×16, first 2 shown]
	ds_read2_b64 v[54:57], v53 offset0:128 offset1:160
	ds_read2_b64 v[62:65], v53 offset0:192 offset1:224
	ds_read2_b64 v[66:69], v51 offset1:32
	ds_read2_b64 v[74:77], v51 offset0:64 offset1:96
	ds_read2_b64 v[83:86], v51 offset0:128 offset1:160
	;; [unrolled: 1-line block ×3, first 2 shown]
	ds_read2_b64 v[92:95], v50 offset1:32
	ds_read2_b64 v[96:99], v50 offset0:64 offset1:96
	ds_read_b128 v[100:103], v41 offset:576
	ds_read_b128 v[104:107], v41 offset:592
	ds_read2_b64 v[108:111], v50 offset0:128 offset1:160
	ds_read2_b64 v[112:115], v50 offset0:192 offset1:224
	ds_read2_b64 v[116:119], v49 offset1:32
	ds_read2_b64 v[120:123], v49 offset0:64 offset1:96
	ds_read2_b64 v[124:127], v49 offset0:128 offset1:160
	;; [unrolled: 1-line block ×3, first 2 shown]
	ds_read2_b64 v[132:135], v48 offset1:32
	ds_read2_b64 v[136:139], v48 offset0:64 offset1:96
	ds_read_b128 v[140:143], v41 offset:608
	ds_read_b128 v[144:147], v41 offset:624
	ds_read2_b64 v[148:151], v48 offset0:128 offset1:160
	ds_read2_b64 v[152:155], v48 offset0:192 offset1:224
	s_waitcnt lgkmcnt(0)
	s_barrier
	buffer_gl0_inv
	s_clause 0x3
	global_load_dwordx4 v[156:159], v[5:6], off
	global_load_dwordx4 v[160:163], v[5:6], off offset:512
	global_load_dwordx4 v[164:167], v[58:59], off
	global_load_dwordx4 v[168:171], v[58:59], off offset:512
	v_pk_fma_f16 v5, v60, v179, v172
	v_pk_fma_f16 v6, v60, v180, v173
	;; [unrolled: 1-line block ×6, first 2 shown]
	v_mul_u32_u24_sdwa v174, v7, v47 dst_sel:DWORD dst_unused:UNUSED_PAD src0_sel:WORD_0 src1_sel:DWORD
	v_mul_u32_u24_sdwa v7, v7, v47 dst_sel:DWORD dst_unused:UNUSED_PAD src0_sel:WORD_1 src1_sel:DWORD
	v_mul_u32_u24_sdwa v175, v8, v47 dst_sel:DWORD dst_unused:UNUSED_PAD src0_sel:WORD_0 src1_sel:DWORD
	v_mul_u32_u24_sdwa v8, v8, v47 dst_sel:DWORD dst_unused:UNUSED_PAD src0_sel:WORD_1 src1_sel:DWORD
	v_pk_fma_f16 v60, v61, v179, v176
	v_pk_fma_f16 v61, v61, v182, v183
	;; [unrolled: 1-line block ×32, first 2 shown]
	v_mul_u32_u24_sdwa v172, v100, v47 dst_sel:DWORD dst_unused:UNUSED_PAD src0_sel:WORD_0 src1_sel:DWORD
	v_mul_u32_u24_sdwa v100, v100, v47 dst_sel:DWORD dst_unused:UNUSED_PAD src0_sel:WORD_1 src1_sel:DWORD
	v_mul_u32_u24_sdwa v173, v101, v47 dst_sel:DWORD dst_unused:UNUSED_PAD src0_sel:WORD_0 src1_sel:DWORD
	v_mul_u32_u24_sdwa v101, v101, v47 dst_sel:DWORD dst_unused:UNUSED_PAD src0_sel:WORD_1 src1_sel:DWORD
	v_pk_fma_f16 v60, v65, v174, v60
	v_pk_fma_f16 v8, v65, v8, v61
	;; [unrolled: 1-line block ×31, first 2 shown]
	v_mul_u32_u24_sdwa v75, v102, v47 dst_sel:DWORD dst_unused:UNUSED_PAD src0_sel:WORD_0 src1_sel:DWORD
	v_mul_u32_u24_sdwa v76, v102, v47 dst_sel:DWORD dst_unused:UNUSED_PAD src0_sel:WORD_1 src1_sel:DWORD
	v_mul_u32_u24_sdwa v100, v103, v47 dst_sel:DWORD dst_unused:UNUSED_PAD src0_sel:WORD_0 src1_sel:DWORD
	v_mul_u32_u24_sdwa v102, v103, v47 dst_sel:DWORD dst_unused:UNUSED_PAD src0_sel:WORD_1 src1_sel:DWORD
	v_pk_fma_f16 v60, v77, v172, v60
	v_pk_fma_f16 v8, v77, v101, v8
	;; [unrolled: 1-line block ×13, first 2 shown]
	v_mul_u32_u24_sdwa v89, v105, v47 dst_sel:DWORD dst_unused:UNUSED_PAD src0_sel:WORD_1 src1_sel:DWORD
	v_pk_fma_f16 v64, v77, v173, v64
	v_pk_fma_f16 v61, v83, v75, v61
	;; [unrolled: 1-line block ×17, first 2 shown]
	v_mul_u32_u24_sdwa v75, v104, v47 dst_sel:DWORD dst_unused:UNUSED_PAD src0_sel:WORD_0 src1_sel:DWORD
	v_mul_u32_u24_sdwa v76, v104, v47 dst_sel:DWORD dst_unused:UNUSED_PAD src0_sel:WORD_1 src1_sel:DWORD
	v_pk_fma_f16 v8, v91, v102, v8
	v_pk_fma_f16 v54, v92, v89, v54
	;; [unrolled: 1-line block ×5, first 2 shown]
	v_mul_u32_u24_sdwa v90, v107, v47 dst_sel:DWORD dst_unused:UNUSED_PAD src0_sel:WORD_1 src1_sel:DWORD
	v_pk_fma_f16 v77, v83, v100, v174
	v_pk_fma_f16 v83, v85, v100, v175
	v_pk_fma_f16 v85, v88, v100, v177
	v_pk_fma_f16 v64, v91, v100, v64
	v_mul_u32_u24_sdwa v88, v105, v47 dst_sel:DWORD dst_unused:UNUSED_PAD src0_sel:WORD_0 src1_sel:DWORD
	v_pk_fma_f16 v61, v92, v75, v61
	v_pk_fma_f16 v65, v92, v76, v65
	v_pk_fma_f16 v66, v93, v75, v66
	v_pk_fma_f16 v71, v93, v76, v71
	v_pk_fma_f16 v67, v94, v75, v67
	v_pk_fma_f16 v79, v94, v76, v79
	v_pk_fma_f16 v68, v95, v75, v68
	v_pk_fma_f16 v70, v95, v76, v70
	v_pk_fma_f16 v69, v96, v75, v69
	v_pk_fma_f16 v84, v96, v76, v84
	v_pk_fma_f16 v62, v96, v89, v62
	v_pk_fma_f16 v74, v97, v75, v74
	v_pk_fma_f16 v78, v97, v76, v78
	v_pk_fma_f16 v63, v97, v89, v63
	v_pk_fma_f16 v5, v98, v75, v5
	v_pk_fma_f16 v6, v98, v76, v6
	v_pk_fma_f16 v59, v98, v89, v59
	v_pk_fma_f16 v60, v99, v75, v60
	v_pk_fma_f16 v7, v99, v76, v7
	v_mul_u32_u24_sdwa v75, v106, v47 dst_sel:DWORD dst_unused:UNUSED_PAD src0_sel:WORD_0 src1_sel:DWORD
	v_mul_u32_u24_sdwa v76, v106, v47 dst_sel:DWORD dst_unused:UNUSED_PAD src0_sel:WORD_1 src1_sel:DWORD
	v_pk_fma_f16 v8, v99, v89, v8
	v_pk_fma_f16 v54, v108, v90, v54
	v_pk_fma_f16 v55, v109, v90, v55
	v_pk_fma_f16 v56, v110, v90, v56
	v_pk_fma_f16 v57, v111, v90, v57
	v_mul_u32_u24_sdwa v89, v141, v47 dst_sel:DWORD dst_unused:UNUSED_PAD src0_sel:WORD_1 src1_sel:DWORD
	v_pk_fma_f16 v77, v92, v88, v77
	v_pk_fma_f16 v72, v93, v88, v72
	v_pk_fma_f16 v83, v94, v88, v83
	v_pk_fma_f16 v80, v95, v88, v80
	v_pk_fma_f16 v85, v96, v88, v85
	v_pk_fma_f16 v86, v97, v88, v86
	v_pk_fma_f16 v58, v98, v88, v58
	v_pk_fma_f16 v64, v99, v88, v64
	v_mul_u32_u24_sdwa v88, v107, v47 dst_sel:DWORD dst_unused:UNUSED_PAD src0_sel:WORD_0 src1_sel:DWORD
	v_pk_fma_f16 v61, v108, v75, v61
	v_pk_fma_f16 v65, v108, v76, v65
	v_pk_fma_f16 v66, v109, v75, v66
	v_pk_fma_f16 v71, v109, v76, v71
	v_pk_fma_f16 v67, v110, v75, v67
	v_pk_fma_f16 v79, v110, v76, v79
	v_pk_fma_f16 v68, v111, v75, v68
	v_pk_fma_f16 v70, v111, v76, v70
	v_pk_fma_f16 v69, v112, v75, v69
	v_pk_fma_f16 v84, v112, v76, v84
	v_pk_fma_f16 v62, v112, v90, v62
	v_pk_fma_f16 v74, v113, v75, v74
	v_pk_fma_f16 v78, v113, v76, v78
	v_pk_fma_f16 v63, v113, v90, v63
	v_pk_fma_f16 v5, v114, v75, v5
	v_pk_fma_f16 v6, v114, v76, v6
	v_pk_fma_f16 v59, v114, v90, v59
	v_pk_fma_f16 v60, v115, v75, v60
	v_pk_fma_f16 v7, v115, v76, v7
	v_mul_u32_u24_sdwa v75, v140, v47 dst_sel:DWORD dst_unused:UNUSED_PAD src0_sel:WORD_0 src1_sel:DWORD
	v_mul_u32_u24_sdwa v76, v140, v47 dst_sel:DWORD dst_unused:UNUSED_PAD src0_sel:WORD_1 src1_sel:DWORD
	v_pk_fma_f16 v8, v115, v90, v8
	v_pk_fma_f16 v54, v116, v89, v54
	v_pk_fma_f16 v55, v117, v89, v55
	v_pk_fma_f16 v56, v118, v89, v56
	v_pk_fma_f16 v57, v119, v89, v57
	v_mul_u32_u24_sdwa v90, v143, v47 dst_sel:DWORD dst_unused:UNUSED_PAD src0_sel:WORD_1 src1_sel:DWORD
	v_pk_fma_f16 v77, v108, v88, v77
	v_pk_fma_f16 v72, v109, v88, v72
	v_pk_fma_f16 v83, v110, v88, v83
	v_pk_fma_f16 v80, v111, v88, v80
	;; [unrolled: 36-line block ×3, first 2 shown]
	v_pk_fma_f16 v85, v120, v88, v85
	v_pk_fma_f16 v86, v121, v88, v86
	;; [unrolled: 1-line block ×4, first 2 shown]
	v_mul_u32_u24_sdwa v88, v143, v47 dst_sel:DWORD dst_unused:UNUSED_PAD src0_sel:WORD_0 src1_sel:DWORD
	v_pk_fma_f16 v61, v124, v75, v61
	v_pk_fma_f16 v65, v124, v76, v65
	;; [unrolled: 1-line block ×16, first 2 shown]
	v_mul_u32_u24_sdwa v75, v144, v47 dst_sel:DWORD dst_unused:UNUSED_PAD src0_sel:WORD_0 src1_sel:DWORD
	v_mul_u32_u24_sdwa v76, v144, v47 dst_sel:DWORD dst_unused:UNUSED_PAD src0_sel:WORD_1 src1_sel:DWORD
	v_pk_fma_f16 v54, v132, v89, v54
	v_pk_fma_f16 v55, v133, v89, v55
	;; [unrolled: 1-line block ×4, first 2 shown]
	v_mul_u32_u24_sdwa v93, v147, v47 dst_sel:DWORD dst_unused:UNUSED_PAD src0_sel:WORD_1 src1_sel:DWORD
	v_pk_fma_f16 v77, v124, v88, v77
	v_pk_fma_f16 v72, v125, v88, v72
	;; [unrolled: 1-line block ×11, first 2 shown]
	v_mul_u32_u24_sdwa v88, v145, v47 dst_sel:DWORD dst_unused:UNUSED_PAD src0_sel:WORD_0 src1_sel:DWORD
	v_pk_fma_f16 v8, v131, v90, v8
	v_pk_fma_f16 v61, v132, v75, v61
	;; [unrolled: 1-line block ×10, first 2 shown]
	v_mul_u32_u24_sdwa v76, v146, v47 dst_sel:DWORD dst_unused:UNUSED_PAD src0_sel:WORD_0 src1_sel:DWORD
	v_pk_fma_f16 v96, v148, v93, v54
	v_pk_fma_f16 v98, v149, v93, v55
	;; [unrolled: 1-line block ×4, first 2 shown]
	s_waitcnt vmcnt(3)
	ds_write_b128 v42, v[156:159]
	s_waitcnt vmcnt(2)
	ds_write_b128 v43, v[160:163]
	;; [unrolled: 2-line block ×4, first 2 shown]
	s_waitcnt lgkmcnt(0)
	s_barrier
	buffer_gl0_inv
	ds_read_b128 v[54:57], v41 offset:640
	v_pk_fma_f16 v66, v133, v75, v66
	v_pk_fma_f16 v67, v134, v75, v67
	;; [unrolled: 1-line block ×13, first 2 shown]
	ds_read2_b64 v[58:61], v82 offset1:32
	v_pk_fma_f16 v77, v132, v88, v77
	v_pk_fma_f16 v72, v133, v88, v72
	;; [unrolled: 1-line block ×7, first 2 shown]
	v_mul_u32_u24_sdwa v88, v146, v47 dst_sel:DWORD dst_unused:UNUSED_PAD src0_sel:WORD_1 src1_sel:DWORD
	v_mul_u32_u24_sdwa v92, v147, v47 dst_sel:DWORD dst_unused:UNUSED_PAD src0_sel:WORD_0 src1_sel:DWORD
	v_pk_fma_f16 v97, v149, v76, v66
	v_pk_fma_f16 v99, v150, v76, v67
	;; [unrolled: 1-line block ×11, first 2 shown]
	s_waitcnt lgkmcnt(1)
	v_mul_u32_u24_sdwa v110, v54, v47 dst_sel:DWORD dst_unused:UNUSED_PAD src0_sel:WORD_0 src1_sel:DWORD
	v_mul_u32_u24_sdwa v54, v54, v47 dst_sel:DWORD dst_unused:UNUSED_PAD src0_sel:WORD_1 src1_sel:DWORD
	v_mul_u32_u24_sdwa v111, v55, v47 dst_sel:DWORD dst_unused:UNUSED_PAD src0_sel:WORD_0 src1_sel:DWORD
	v_mul_u32_u24_sdwa v55, v55, v47 dst_sel:DWORD dst_unused:UNUSED_PAD src0_sel:WORD_1 src1_sel:DWORD
	v_pk_fma_f16 v103, v152, v76, v69
	v_pk_fma_f16 v85, v152, v92, v85
	v_pk_fma_f16 v104, v152, v93, v62
	v_pk_fma_f16 v86, v153, v92, v86
	v_pk_fma_f16 v106, v153, v93, v63
	v_pk_fma_f16 v90, v154, v92, v90
	v_pk_fma_f16 v92, v155, v92, v64
	ds_read2_b64 v[62:65], v82 offset0:64 offset1:96
	ds_read_b128 v[66:69], v41 offset:656
	v_pk_fma_f16 v84, v152, v88, v84
	v_pk_fma_f16 v105, v153, v76, v74
	;; [unrolled: 1-line block ×9, first 2 shown]
	ds_read_b128 v[74:77], v41 offset:672
	ds_read_b128 v[5:8], v41 offset:688
	s_waitcnt lgkmcnt(4)
	v_pk_fma_f16 v89, v58, v110, v89
	v_pk_fma_f16 v94, v58, v54, v94
	v_pk_fma_f16 v95, v58, v111, v95
	v_pk_fma_f16 v96, v58, v55, v96
	v_pk_fma_f16 v97, v59, v110, v97
	v_pk_fma_f16 v71, v59, v54, v71
	v_pk_fma_f16 v72, v59, v111, v72
	v_pk_fma_f16 v98, v59, v55, v98
	v_pk_fma_f16 v99, v60, v110, v99
	v_pk_fma_f16 v79, v60, v54, v79
	v_pk_fma_f16 v112, v60, v111, v83
	v_pk_fma_f16 v100, v60, v55, v100
	v_pk_fma_f16 v101, v61, v110, v101
	v_pk_fma_f16 v70, v61, v54, v70
	v_pk_fma_f16 v80, v61, v111, v80
	v_pk_fma_f16 v102, v61, v55, v102
	ds_read2_b64 v[58:61], v82 offset0:128 offset1:160
	s_waitcnt lgkmcnt(4)
	v_pk_fma_f16 v103, v62, v110, v103
	v_pk_fma_f16 v113, v62, v54, v84
	;; [unrolled: 1-line block ×14, first 2 shown]
	ds_read2_b64 v[83:86], v82 offset0:192 offset1:224
	v_mul_u32_u24_sdwa v108, v56, v47 dst_sel:DWORD dst_unused:UNUSED_PAD src0_sel:WORD_0 src1_sel:DWORD
	v_mul_u32_u24_sdwa v109, v56, v47 dst_sel:DWORD dst_unused:UNUSED_PAD src0_sel:WORD_1 src1_sel:DWORD
	v_mul_u32_u24_sdwa v110, v57, v47 dst_sel:DWORD dst_unused:UNUSED_PAD src0_sel:WORD_0 src1_sel:DWORD
	v_mul_u32_u24_sdwa v111, v57, v47 dst_sel:DWORD dst_unused:UNUSED_PAD src0_sel:WORD_1 src1_sel:DWORD
	v_pk_fma_f16 v88, v65, v54, v88
	v_pk_fma_f16 v65, v65, v55, v93
	s_waitcnt lgkmcnt(1)
	v_pk_fma_f16 v89, v58, v108, v89
	v_pk_fma_f16 v93, v58, v109, v94
	;; [unrolled: 1-line block ×16, first 2 shown]
	ds_read2_b64 v[54:57], v81 offset1:32
	ds_read2_b64 v[58:61], v81 offset0:64 offset1:96
	s_waitcnt lgkmcnt(2)
	v_pk_fma_f16 v103, v83, v108, v103
	v_pk_fma_f16 v112, v83, v109, v113
	v_pk_fma_f16 v113, v83, v110, v114
	v_pk_fma_f16 v62, v83, v111, v62
	v_pk_fma_f16 v83, v84, v108, v104
	v_pk_fma_f16 v78, v84, v109, v78
	v_pk_fma_f16 v104, v84, v110, v105
	v_pk_fma_f16 v63, v84, v111, v63
	v_pk_fma_f16 v84, v85, v108, v106
	v_pk_fma_f16 v105, v85, v109, v107
	v_pk_fma_f16 v90, v85, v110, v90
	v_pk_fma_f16 v64, v85, v111, v64
	v_pk_fma_f16 v85, v86, v108, v91
	v_pk_fma_f16 v91, v86, v110, v92
	v_mul_u32_u24_sdwa v92, v66, v47 dst_sel:DWORD dst_unused:UNUSED_PAD src0_sel:WORD_0 src1_sel:DWORD
	v_mul_u32_u24_sdwa v66, v66, v47 dst_sel:DWORD dst_unused:UNUSED_PAD src0_sel:WORD_1 src1_sel:DWORD
	v_mul_u32_u24_sdwa v106, v67, v47 dst_sel:DWORD dst_unused:UNUSED_PAD src0_sel:WORD_0 src1_sel:DWORD
	v_mul_u32_u24_sdwa v67, v67, v47 dst_sel:DWORD dst_unused:UNUSED_PAD src0_sel:WORD_1 src1_sel:DWORD
	v_pk_fma_f16 v88, v86, v109, v88
	v_pk_fma_f16 v86, v86, v111, v65
	s_waitcnt lgkmcnt(1)
	v_pk_fma_f16 v89, v54, v92, v89
	v_pk_fma_f16 v93, v54, v66, v93
	;; [unrolled: 1-line block ×16, first 2 shown]
	s_waitcnt lgkmcnt(0)
	v_pk_fma_f16 v103, v58, v92, v103
	v_pk_fma_f16 v107, v58, v66, v112
	ds_read2_b64 v[54:57], v81 offset0:128 offset1:160
	v_pk_fma_f16 v108, v58, v106, v113
	v_pk_fma_f16 v58, v58, v67, v62
	;; [unrolled: 1-line block ×10, first 2 shown]
	ds_read2_b64 v[62:65], v81 offset0:192 offset1:224
	v_pk_fma_f16 v85, v61, v92, v85
	v_pk_fma_f16 v66, v61, v66, v88
	;; [unrolled: 1-line block ×3, first 2 shown]
	v_mul_u32_u24_sdwa v91, v68, v47 dst_sel:DWORD dst_unused:UNUSED_PAD src0_sel:WORD_0 src1_sel:DWORD
	v_mul_u32_u24_sdwa v68, v68, v47 dst_sel:DWORD dst_unused:UNUSED_PAD src0_sel:WORD_1 src1_sel:DWORD
	v_mul_u32_u24_sdwa v92, v69, v47 dst_sel:DWORD dst_unused:UNUSED_PAD src0_sel:WORD_0 src1_sel:DWORD
	v_mul_u32_u24_sdwa v69, v69, v47 dst_sel:DWORD dst_unused:UNUSED_PAD src0_sel:WORD_1 src1_sel:DWORD
	v_pk_fma_f16 v67, v61, v67, v86
	s_waitcnt lgkmcnt(1)
	v_pk_fma_f16 v86, v54, v91, v89
	v_pk_fma_f16 v89, v54, v68, v93
	;; [unrolled: 1-line block ×16, first 2 shown]
	s_waitcnt lgkmcnt(0)
	v_pk_fma_f16 v102, v62, v91, v103
	v_pk_fma_f16 v103, v62, v68, v107
	ds_read2_b64 v[54:57], v52 offset1:32
	v_pk_fma_f16 v106, v62, v92, v108
	v_pk_fma_f16 v62, v62, v69, v58
	;; [unrolled: 1-line block ×10, first 2 shown]
	ds_read2_b64 v[58:61], v52 offset0:64 offset1:96
	v_pk_fma_f16 v85, v65, v91, v85
	v_pk_fma_f16 v66, v65, v68, v66
	v_pk_fma_f16 v68, v65, v92, v88
	v_mul_u32_u24_sdwa v88, v74, v47 dst_sel:DWORD dst_unused:UNUSED_PAD src0_sel:WORD_0 src1_sel:DWORD
	v_mul_u32_u24_sdwa v74, v74, v47 dst_sel:DWORD dst_unused:UNUSED_PAD src0_sel:WORD_1 src1_sel:DWORD
	v_mul_u32_u24_sdwa v91, v75, v47 dst_sel:DWORD dst_unused:UNUSED_PAD src0_sel:WORD_0 src1_sel:DWORD
	v_mul_u32_u24_sdwa v75, v75, v47 dst_sel:DWORD dst_unused:UNUSED_PAD src0_sel:WORD_1 src1_sel:DWORD
	v_pk_fma_f16 v67, v65, v69, v67
	s_waitcnt lgkmcnt(1)
	v_pk_fma_f16 v69, v54, v88, v86
	v_pk_fma_f16 v86, v54, v74, v89
	v_pk_fma_f16 v89, v54, v91, v93
	v_pk_fma_f16 v92, v54, v75, v94
	v_pk_fma_f16 v93, v55, v88, v95
	v_pk_fma_f16 v71, v55, v74, v71
	v_pk_fma_f16 v72, v55, v91, v72
	v_pk_fma_f16 v94, v55, v75, v96
	v_pk_fma_f16 v95, v56, v88, v97
	v_pk_fma_f16 v79, v56, v74, v79
	v_pk_fma_f16 v96, v56, v91, v98
	v_pk_fma_f16 v97, v56, v75, v99
	v_pk_fma_f16 v98, v57, v88, v100
	v_pk_fma_f16 v70, v57, v74, v70
	v_pk_fma_f16 v80, v57, v91, v80
	v_pk_fma_f16 v99, v57, v75, v101
	s_waitcnt lgkmcnt(0)
	v_pk_fma_f16 v100, v58, v88, v102
	v_pk_fma_f16 v101, v58, v74, v103
	ds_read2_b64 v[54:57], v52 offset0:128 offset1:160
	v_pk_fma_f16 v102, v58, v91, v106
	v_pk_fma_f16 v58, v58, v75, v62
	;; [unrolled: 1-line block ×10, first 2 shown]
	ds_read2_b64 v[62:65], v52 offset0:192 offset1:224
	v_pk_fma_f16 v85, v61, v88, v85
	v_pk_fma_f16 v66, v61, v74, v66
	v_mul_u32_u24_sdwa v74, v76, v47 dst_sel:DWORD dst_unused:UNUSED_PAD src0_sel:WORD_0 src1_sel:DWORD
	v_mul_u32_u24_sdwa v76, v76, v47 dst_sel:DWORD dst_unused:UNUSED_PAD src0_sel:WORD_1 src1_sel:DWORD
	v_mul_u32_u24_sdwa v88, v77, v47 dst_sel:DWORD dst_unused:UNUSED_PAD src0_sel:WORD_0 src1_sel:DWORD
	v_mul_u32_u24_sdwa v77, v77, v47 dst_sel:DWORD dst_unused:UNUSED_PAD src0_sel:WORD_1 src1_sel:DWORD
	v_pk_fma_f16 v68, v61, v91, v68
	v_pk_fma_f16 v67, v61, v75, v67
	s_waitcnt lgkmcnt(1)
	v_pk_fma_f16 v75, v54, v76, v86
	v_pk_fma_f16 v86, v54, v88, v89
	;; [unrolled: 1-line block ×11, first 2 shown]
	s_waitcnt lgkmcnt(0)
	v_pk_fma_f16 v98, v62, v74, v100
	v_pk_fma_f16 v99, v62, v76, v101
	;; [unrolled: 1-line block ×9, first 2 shown]
	ds_read2_b64 v[58:61], v53 offset0:64 offset1:96
	v_pk_fma_f16 v71, v55, v76, v71
	v_pk_fma_f16 v72, v55, v88, v72
	;; [unrolled: 1-line block ×5, first 2 shown]
	ds_read2_b64 v[54:57], v53 offset1:32
	s_or_b32 s0, s8, 0x60
	v_mul_u32_u24_sdwa v179, v5, v47 dst_sel:DWORD dst_unused:UNUSED_PAD src0_sel:WORD_0 src1_sel:DWORD
	s_mul_hi_i32 s19, s0, s9
	s_mul_i32 s18, s0, s9
	v_mul_u32_u24_sdwa v180, v5, v47 dst_sel:DWORD dst_unused:UNUSED_PAD src0_sel:WORD_1 src1_sel:DWORD
	s_lshl_b64 s[18:19], s[18:19], 2
	v_mul_u32_u24_sdwa v181, v6, v47 dst_sel:DWORD dst_unused:UNUSED_PAD src0_sel:WORD_0 src1_sel:DWORD
	v_mul_u32_u24_sdwa v182, v6, v47 dst_sel:DWORD dst_unused:UNUSED_PAD src0_sel:WORD_1 src1_sel:DWORD
	s_add_u32 s0, s12, s18
	s_addc_u32 s15, s13, s19
	v_add_co_u32 v5, vcc_lo, s0, v27
	v_add_co_ci_u32_e64 v6, null, s15, v28, vcc_lo
	s_waitcnt lgkmcnt(1)
	v_pk_fma_f16 v195, v58, v179, v98
	v_pk_fma_f16 v196, v58, v180, v99
	;; [unrolled: 1-line block ×4, first 2 shown]
	v_add_co_u32 v58, vcc_lo, s0, v29
	v_pk_fma_f16 v199, v59, v179, v83
	v_pk_fma_f16 v78, v59, v180, v78
	;; [unrolled: 1-line block ×4, first 2 shown]
	v_add_co_ci_u32_e64 v59, null, s15, v30, vcc_lo
	v_add_co_u32 v5, vcc_lo, v5, v87
	v_add_co_ci_u32_e64 v6, null, 0, v6, vcc_lo
	v_add_co_u32 v58, vcc_lo, v58, v87
	v_add_co_ci_u32_e64 v59, null, 0, v59, vcc_lo
	v_pk_fma_f16 v172, v64, v74, v84
	v_pk_fma_f16 v173, v64, v76, v104
	;; [unrolled: 1-line block ×7, first 2 shown]
	s_waitcnt lgkmcnt(0)
	v_pk_fma_f16 v184, v54, v179, v69
	v_pk_fma_f16 v185, v54, v180, v75
	;; [unrolled: 1-line block ×16, first 2 shown]
	ds_read2_b64 v[54:57], v53 offset0:128 offset1:160
	ds_read2_b64 v[62:65], v53 offset0:192 offset1:224
	ds_read2_b64 v[66:69], v51 offset1:32
	ds_read2_b64 v[74:77], v51 offset0:64 offset1:96
	ds_read2_b64 v[83:86], v51 offset0:128 offset1:160
	;; [unrolled: 1-line block ×3, first 2 shown]
	ds_read2_b64 v[92:95], v50 offset1:32
	ds_read2_b64 v[96:99], v50 offset0:64 offset1:96
	ds_read_b128 v[100:103], v41 offset:704
	ds_read_b128 v[104:107], v41 offset:720
	ds_read2_b64 v[108:111], v50 offset0:128 offset1:160
	ds_read2_b64 v[112:115], v50 offset0:192 offset1:224
	ds_read2_b64 v[116:119], v49 offset1:32
	ds_read2_b64 v[120:123], v49 offset0:64 offset1:96
	ds_read2_b64 v[124:127], v49 offset0:128 offset1:160
	;; [unrolled: 1-line block ×3, first 2 shown]
	ds_read2_b64 v[132:135], v48 offset1:32
	ds_read2_b64 v[136:139], v48 offset0:64 offset1:96
	ds_read_b128 v[140:143], v41 offset:736
	ds_read_b128 v[144:147], v41 offset:752
	ds_read2_b64 v[148:151], v48 offset0:128 offset1:160
	ds_read2_b64 v[152:155], v48 offset0:192 offset1:224
	s_waitcnt lgkmcnt(0)
	s_barrier
	buffer_gl0_inv
	s_clause 0x3
	global_load_dwordx4 v[156:159], v[5:6], off
	global_load_dwordx4 v[160:163], v[5:6], off offset:512
	global_load_dwordx4 v[164:167], v[58:59], off
	global_load_dwordx4 v[168:171], v[58:59], off offset:512
	v_pk_fma_f16 v5, v60, v179, v172
	v_pk_fma_f16 v6, v60, v180, v173
	v_pk_fma_f16 v58, v60, v181, v174
	v_pk_fma_f16 v59, v60, v182, v175
	v_pk_fma_f16 v172, v61, v180, v177
	v_pk_fma_f16 v173, v61, v181, v178
	v_mul_u32_u24_sdwa v174, v7, v47 dst_sel:DWORD dst_unused:UNUSED_PAD src0_sel:WORD_0 src1_sel:DWORD
	v_mul_u32_u24_sdwa v7, v7, v47 dst_sel:DWORD dst_unused:UNUSED_PAD src0_sel:WORD_1 src1_sel:DWORD
	v_mul_u32_u24_sdwa v175, v8, v47 dst_sel:DWORD dst_unused:UNUSED_PAD src0_sel:WORD_0 src1_sel:DWORD
	v_mul_u32_u24_sdwa v8, v8, v47 dst_sel:DWORD dst_unused:UNUSED_PAD src0_sel:WORD_1 src1_sel:DWORD
	v_pk_fma_f16 v60, v61, v179, v176
	v_pk_fma_f16 v61, v61, v182, v183
	;; [unrolled: 1-line block ×32, first 2 shown]
	v_mul_u32_u24_sdwa v172, v100, v47 dst_sel:DWORD dst_unused:UNUSED_PAD src0_sel:WORD_0 src1_sel:DWORD
	v_mul_u32_u24_sdwa v100, v100, v47 dst_sel:DWORD dst_unused:UNUSED_PAD src0_sel:WORD_1 src1_sel:DWORD
	v_mul_u32_u24_sdwa v173, v101, v47 dst_sel:DWORD dst_unused:UNUSED_PAD src0_sel:WORD_0 src1_sel:DWORD
	v_mul_u32_u24_sdwa v101, v101, v47 dst_sel:DWORD dst_unused:UNUSED_PAD src0_sel:WORD_1 src1_sel:DWORD
	v_pk_fma_f16 v60, v65, v174, v60
	v_pk_fma_f16 v8, v65, v8, v61
	;; [unrolled: 1-line block ×31, first 2 shown]
	v_mul_u32_u24_sdwa v75, v102, v47 dst_sel:DWORD dst_unused:UNUSED_PAD src0_sel:WORD_0 src1_sel:DWORD
	v_mul_u32_u24_sdwa v76, v102, v47 dst_sel:DWORD dst_unused:UNUSED_PAD src0_sel:WORD_1 src1_sel:DWORD
	v_mul_u32_u24_sdwa v100, v103, v47 dst_sel:DWORD dst_unused:UNUSED_PAD src0_sel:WORD_0 src1_sel:DWORD
	v_mul_u32_u24_sdwa v102, v103, v47 dst_sel:DWORD dst_unused:UNUSED_PAD src0_sel:WORD_1 src1_sel:DWORD
	v_pk_fma_f16 v60, v77, v172, v60
	v_pk_fma_f16 v8, v77, v101, v8
	;; [unrolled: 1-line block ×13, first 2 shown]
	v_mul_u32_u24_sdwa v89, v105, v47 dst_sel:DWORD dst_unused:UNUSED_PAD src0_sel:WORD_1 src1_sel:DWORD
	v_pk_fma_f16 v64, v77, v173, v64
	v_pk_fma_f16 v61, v83, v75, v61
	;; [unrolled: 1-line block ×17, first 2 shown]
	v_mul_u32_u24_sdwa v75, v104, v47 dst_sel:DWORD dst_unused:UNUSED_PAD src0_sel:WORD_0 src1_sel:DWORD
	v_mul_u32_u24_sdwa v76, v104, v47 dst_sel:DWORD dst_unused:UNUSED_PAD src0_sel:WORD_1 src1_sel:DWORD
	v_pk_fma_f16 v8, v91, v102, v8
	v_pk_fma_f16 v54, v92, v89, v54
	;; [unrolled: 1-line block ×5, first 2 shown]
	v_mul_u32_u24_sdwa v90, v107, v47 dst_sel:DWORD dst_unused:UNUSED_PAD src0_sel:WORD_1 src1_sel:DWORD
	v_pk_fma_f16 v77, v83, v100, v174
	v_pk_fma_f16 v83, v85, v100, v175
	v_pk_fma_f16 v85, v88, v100, v177
	v_pk_fma_f16 v64, v91, v100, v64
	v_mul_u32_u24_sdwa v88, v105, v47 dst_sel:DWORD dst_unused:UNUSED_PAD src0_sel:WORD_0 src1_sel:DWORD
	v_pk_fma_f16 v61, v92, v75, v61
	v_pk_fma_f16 v65, v92, v76, v65
	v_pk_fma_f16 v66, v93, v75, v66
	v_pk_fma_f16 v71, v93, v76, v71
	v_pk_fma_f16 v67, v94, v75, v67
	v_pk_fma_f16 v79, v94, v76, v79
	v_pk_fma_f16 v68, v95, v75, v68
	v_pk_fma_f16 v70, v95, v76, v70
	v_pk_fma_f16 v69, v96, v75, v69
	v_pk_fma_f16 v84, v96, v76, v84
	v_pk_fma_f16 v62, v96, v89, v62
	v_pk_fma_f16 v74, v97, v75, v74
	v_pk_fma_f16 v78, v97, v76, v78
	v_pk_fma_f16 v63, v97, v89, v63
	v_pk_fma_f16 v5, v98, v75, v5
	v_pk_fma_f16 v6, v98, v76, v6
	v_pk_fma_f16 v59, v98, v89, v59
	v_pk_fma_f16 v60, v99, v75, v60
	v_pk_fma_f16 v7, v99, v76, v7
	v_mul_u32_u24_sdwa v75, v106, v47 dst_sel:DWORD dst_unused:UNUSED_PAD src0_sel:WORD_0 src1_sel:DWORD
	v_mul_u32_u24_sdwa v76, v106, v47 dst_sel:DWORD dst_unused:UNUSED_PAD src0_sel:WORD_1 src1_sel:DWORD
	v_pk_fma_f16 v8, v99, v89, v8
	v_pk_fma_f16 v54, v108, v90, v54
	v_pk_fma_f16 v55, v109, v90, v55
	v_pk_fma_f16 v56, v110, v90, v56
	v_pk_fma_f16 v57, v111, v90, v57
	v_mul_u32_u24_sdwa v89, v141, v47 dst_sel:DWORD dst_unused:UNUSED_PAD src0_sel:WORD_1 src1_sel:DWORD
	v_pk_fma_f16 v77, v92, v88, v77
	v_pk_fma_f16 v72, v93, v88, v72
	v_pk_fma_f16 v83, v94, v88, v83
	v_pk_fma_f16 v80, v95, v88, v80
	v_pk_fma_f16 v85, v96, v88, v85
	v_pk_fma_f16 v86, v97, v88, v86
	v_pk_fma_f16 v58, v98, v88, v58
	v_pk_fma_f16 v64, v99, v88, v64
	v_mul_u32_u24_sdwa v88, v107, v47 dst_sel:DWORD dst_unused:UNUSED_PAD src0_sel:WORD_0 src1_sel:DWORD
	v_pk_fma_f16 v61, v108, v75, v61
	v_pk_fma_f16 v65, v108, v76, v65
	v_pk_fma_f16 v66, v109, v75, v66
	v_pk_fma_f16 v71, v109, v76, v71
	v_pk_fma_f16 v67, v110, v75, v67
	v_pk_fma_f16 v79, v110, v76, v79
	v_pk_fma_f16 v68, v111, v75, v68
	v_pk_fma_f16 v70, v111, v76, v70
	v_pk_fma_f16 v69, v112, v75, v69
	v_pk_fma_f16 v84, v112, v76, v84
	v_pk_fma_f16 v62, v112, v90, v62
	v_pk_fma_f16 v74, v113, v75, v74
	v_pk_fma_f16 v78, v113, v76, v78
	v_pk_fma_f16 v63, v113, v90, v63
	v_pk_fma_f16 v5, v114, v75, v5
	v_pk_fma_f16 v6, v114, v76, v6
	v_pk_fma_f16 v59, v114, v90, v59
	v_pk_fma_f16 v60, v115, v75, v60
	v_pk_fma_f16 v7, v115, v76, v7
	v_mul_u32_u24_sdwa v75, v140, v47 dst_sel:DWORD dst_unused:UNUSED_PAD src0_sel:WORD_0 src1_sel:DWORD
	v_mul_u32_u24_sdwa v76, v140, v47 dst_sel:DWORD dst_unused:UNUSED_PAD src0_sel:WORD_1 src1_sel:DWORD
	v_pk_fma_f16 v8, v115, v90, v8
	v_pk_fma_f16 v54, v116, v89, v54
	v_pk_fma_f16 v55, v117, v89, v55
	v_pk_fma_f16 v56, v118, v89, v56
	v_pk_fma_f16 v57, v119, v89, v57
	v_mul_u32_u24_sdwa v90, v143, v47 dst_sel:DWORD dst_unused:UNUSED_PAD src0_sel:WORD_1 src1_sel:DWORD
	v_pk_fma_f16 v77, v108, v88, v77
	v_pk_fma_f16 v72, v109, v88, v72
	v_pk_fma_f16 v83, v110, v88, v83
	v_pk_fma_f16 v80, v111, v88, v80
	;; [unrolled: 36-line block ×3, first 2 shown]
	v_pk_fma_f16 v85, v120, v88, v85
	v_pk_fma_f16 v86, v121, v88, v86
	;; [unrolled: 1-line block ×4, first 2 shown]
	v_mul_u32_u24_sdwa v88, v143, v47 dst_sel:DWORD dst_unused:UNUSED_PAD src0_sel:WORD_0 src1_sel:DWORD
	v_pk_fma_f16 v61, v124, v75, v61
	v_pk_fma_f16 v65, v124, v76, v65
	;; [unrolled: 1-line block ×16, first 2 shown]
	v_mul_u32_u24_sdwa v75, v144, v47 dst_sel:DWORD dst_unused:UNUSED_PAD src0_sel:WORD_0 src1_sel:DWORD
	v_mul_u32_u24_sdwa v76, v144, v47 dst_sel:DWORD dst_unused:UNUSED_PAD src0_sel:WORD_1 src1_sel:DWORD
	v_pk_fma_f16 v54, v132, v89, v54
	v_pk_fma_f16 v55, v133, v89, v55
	;; [unrolled: 1-line block ×4, first 2 shown]
	v_mul_u32_u24_sdwa v93, v147, v47 dst_sel:DWORD dst_unused:UNUSED_PAD src0_sel:WORD_1 src1_sel:DWORD
	v_pk_fma_f16 v77, v124, v88, v77
	v_pk_fma_f16 v72, v125, v88, v72
	;; [unrolled: 1-line block ×11, first 2 shown]
	v_mul_u32_u24_sdwa v88, v145, v47 dst_sel:DWORD dst_unused:UNUSED_PAD src0_sel:WORD_0 src1_sel:DWORD
	v_pk_fma_f16 v8, v131, v90, v8
	v_pk_fma_f16 v61, v132, v75, v61
	;; [unrolled: 1-line block ×10, first 2 shown]
	v_mul_u32_u24_sdwa v76, v146, v47 dst_sel:DWORD dst_unused:UNUSED_PAD src0_sel:WORD_0 src1_sel:DWORD
	v_pk_fma_f16 v96, v148, v93, v54
	v_pk_fma_f16 v98, v149, v93, v55
	;; [unrolled: 1-line block ×4, first 2 shown]
	s_waitcnt vmcnt(3)
	ds_write_b128 v42, v[156:159]
	s_waitcnt vmcnt(2)
	ds_write_b128 v43, v[160:163]
	s_waitcnt vmcnt(1)
	ds_write_b128 v44, v[164:167]
	s_waitcnt vmcnt(0)
	ds_write_b128 v45, v[168:171]
	s_waitcnt lgkmcnt(0)
	s_barrier
	buffer_gl0_inv
	ds_read_b128 v[54:57], v41 offset:768
	v_pk_fma_f16 v66, v133, v75, v66
	v_pk_fma_f16 v67, v134, v75, v67
	v_pk_fma_f16 v68, v135, v75, v68
	v_pk_fma_f16 v69, v136, v75, v69
	v_pk_fma_f16 v62, v136, v89, v62
	v_pk_fma_f16 v74, v137, v75, v74
	v_pk_fma_f16 v63, v137, v89, v63
	v_pk_fma_f16 v5, v138, v75, v5
	v_pk_fma_f16 v90, v138, v88, v58
	v_pk_fma_f16 v91, v138, v89, v59
	v_pk_fma_f16 v75, v139, v75, v60
	v_pk_fma_f16 v8, v139, v89, v8
	v_pk_fma_f16 v89, v148, v76, v61
	ds_read2_b64 v[58:61], v82 offset1:32
	v_pk_fma_f16 v77, v132, v88, v77
	v_pk_fma_f16 v72, v133, v88, v72
	v_pk_fma_f16 v83, v134, v88, v83
	v_pk_fma_f16 v80, v135, v88, v80
	v_pk_fma_f16 v85, v136, v88, v85
	v_pk_fma_f16 v86, v137, v88, v86
	v_pk_fma_f16 v64, v139, v88, v64
	v_mul_u32_u24_sdwa v88, v146, v47 dst_sel:DWORD dst_unused:UNUSED_PAD src0_sel:WORD_1 src1_sel:DWORD
	v_mul_u32_u24_sdwa v92, v147, v47 dst_sel:DWORD dst_unused:UNUSED_PAD src0_sel:WORD_0 src1_sel:DWORD
	v_pk_fma_f16 v97, v149, v76, v66
	v_pk_fma_f16 v99, v150, v76, v67
	;; [unrolled: 1-line block ×11, first 2 shown]
	s_waitcnt lgkmcnt(1)
	v_mul_u32_u24_sdwa v110, v54, v47 dst_sel:DWORD dst_unused:UNUSED_PAD src0_sel:WORD_0 src1_sel:DWORD
	v_mul_u32_u24_sdwa v54, v54, v47 dst_sel:DWORD dst_unused:UNUSED_PAD src0_sel:WORD_1 src1_sel:DWORD
	v_mul_u32_u24_sdwa v111, v55, v47 dst_sel:DWORD dst_unused:UNUSED_PAD src0_sel:WORD_0 src1_sel:DWORD
	v_mul_u32_u24_sdwa v55, v55, v47 dst_sel:DWORD dst_unused:UNUSED_PAD src0_sel:WORD_1 src1_sel:DWORD
	v_pk_fma_f16 v103, v152, v76, v69
	v_pk_fma_f16 v85, v152, v92, v85
	;; [unrolled: 1-line block ×7, first 2 shown]
	ds_read2_b64 v[62:65], v82 offset0:64 offset1:96
	ds_read_b128 v[66:69], v41 offset:784
	v_pk_fma_f16 v84, v152, v88, v84
	v_pk_fma_f16 v105, v153, v76, v74
	;; [unrolled: 1-line block ×9, first 2 shown]
	ds_read_b128 v[74:77], v41 offset:800
	ds_read_b128 v[5:8], v41 offset:816
	s_waitcnt lgkmcnt(4)
	v_pk_fma_f16 v89, v58, v110, v89
	v_pk_fma_f16 v94, v58, v54, v94
	;; [unrolled: 1-line block ×16, first 2 shown]
	ds_read2_b64 v[58:61], v82 offset0:128 offset1:160
	s_waitcnt lgkmcnt(4)
	v_pk_fma_f16 v103, v62, v110, v103
	v_pk_fma_f16 v113, v62, v54, v84
	;; [unrolled: 1-line block ×14, first 2 shown]
	ds_read2_b64 v[83:86], v82 offset0:192 offset1:224
	v_mul_u32_u24_sdwa v108, v56, v47 dst_sel:DWORD dst_unused:UNUSED_PAD src0_sel:WORD_0 src1_sel:DWORD
	v_mul_u32_u24_sdwa v109, v56, v47 dst_sel:DWORD dst_unused:UNUSED_PAD src0_sel:WORD_1 src1_sel:DWORD
	v_mul_u32_u24_sdwa v110, v57, v47 dst_sel:DWORD dst_unused:UNUSED_PAD src0_sel:WORD_0 src1_sel:DWORD
	v_mul_u32_u24_sdwa v111, v57, v47 dst_sel:DWORD dst_unused:UNUSED_PAD src0_sel:WORD_1 src1_sel:DWORD
	v_pk_fma_f16 v88, v65, v54, v88
	v_pk_fma_f16 v65, v65, v55, v93
	s_waitcnt lgkmcnt(1)
	v_pk_fma_f16 v89, v58, v108, v89
	v_pk_fma_f16 v93, v58, v109, v94
	;; [unrolled: 1-line block ×16, first 2 shown]
	ds_read2_b64 v[54:57], v81 offset1:32
	ds_read2_b64 v[58:61], v81 offset0:64 offset1:96
	s_waitcnt lgkmcnt(2)
	v_pk_fma_f16 v103, v83, v108, v103
	v_pk_fma_f16 v112, v83, v109, v113
	;; [unrolled: 1-line block ×14, first 2 shown]
	v_mul_u32_u24_sdwa v92, v66, v47 dst_sel:DWORD dst_unused:UNUSED_PAD src0_sel:WORD_0 src1_sel:DWORD
	v_mul_u32_u24_sdwa v66, v66, v47 dst_sel:DWORD dst_unused:UNUSED_PAD src0_sel:WORD_1 src1_sel:DWORD
	v_mul_u32_u24_sdwa v106, v67, v47 dst_sel:DWORD dst_unused:UNUSED_PAD src0_sel:WORD_0 src1_sel:DWORD
	v_mul_u32_u24_sdwa v67, v67, v47 dst_sel:DWORD dst_unused:UNUSED_PAD src0_sel:WORD_1 src1_sel:DWORD
	v_pk_fma_f16 v88, v86, v109, v88
	v_pk_fma_f16 v86, v86, v111, v65
	s_waitcnt lgkmcnt(1)
	v_pk_fma_f16 v89, v54, v92, v89
	v_pk_fma_f16 v93, v54, v66, v93
	;; [unrolled: 1-line block ×16, first 2 shown]
	s_waitcnt lgkmcnt(0)
	v_pk_fma_f16 v103, v58, v92, v103
	v_pk_fma_f16 v107, v58, v66, v112
	ds_read2_b64 v[54:57], v81 offset0:128 offset1:160
	v_pk_fma_f16 v108, v58, v106, v113
	v_pk_fma_f16 v58, v58, v67, v62
	v_pk_fma_f16 v83, v59, v92, v83
	v_pk_fma_f16 v78, v59, v66, v78
	v_pk_fma_f16 v104, v59, v106, v104
	v_pk_fma_f16 v59, v59, v67, v63
	v_pk_fma_f16 v84, v60, v92, v84
	v_pk_fma_f16 v105, v60, v66, v105
	v_pk_fma_f16 v90, v60, v106, v90
	v_pk_fma_f16 v60, v60, v67, v64
	ds_read2_b64 v[62:65], v81 offset0:192 offset1:224
	v_pk_fma_f16 v85, v61, v92, v85
	v_pk_fma_f16 v66, v61, v66, v88
	;; [unrolled: 1-line block ×3, first 2 shown]
	v_mul_u32_u24_sdwa v91, v68, v47 dst_sel:DWORD dst_unused:UNUSED_PAD src0_sel:WORD_0 src1_sel:DWORD
	v_mul_u32_u24_sdwa v68, v68, v47 dst_sel:DWORD dst_unused:UNUSED_PAD src0_sel:WORD_1 src1_sel:DWORD
	v_mul_u32_u24_sdwa v92, v69, v47 dst_sel:DWORD dst_unused:UNUSED_PAD src0_sel:WORD_0 src1_sel:DWORD
	v_mul_u32_u24_sdwa v69, v69, v47 dst_sel:DWORD dst_unused:UNUSED_PAD src0_sel:WORD_1 src1_sel:DWORD
	v_pk_fma_f16 v67, v61, v67, v86
	s_waitcnt lgkmcnt(1)
	v_pk_fma_f16 v86, v54, v91, v89
	v_pk_fma_f16 v89, v54, v68, v93
	v_pk_fma_f16 v93, v54, v92, v94
	v_pk_fma_f16 v94, v54, v69, v95
	v_pk_fma_f16 v95, v55, v91, v96
	v_pk_fma_f16 v71, v55, v68, v71
	v_pk_fma_f16 v72, v55, v92, v72
	v_pk_fma_f16 v96, v55, v69, v97
	v_pk_fma_f16 v97, v56, v91, v98
	v_pk_fma_f16 v79, v56, v68, v79
	v_pk_fma_f16 v98, v56, v92, v99
	v_pk_fma_f16 v99, v56, v69, v100
	v_pk_fma_f16 v100, v57, v91, v101
	v_pk_fma_f16 v70, v57, v68, v70
	v_pk_fma_f16 v80, v57, v92, v80
	v_pk_fma_f16 v101, v57, v69, v102
	s_waitcnt lgkmcnt(0)
	v_pk_fma_f16 v102, v62, v91, v103
	v_pk_fma_f16 v103, v62, v68, v107
	ds_read2_b64 v[54:57], v52 offset1:32
	v_pk_fma_f16 v106, v62, v92, v108
	v_pk_fma_f16 v62, v62, v69, v58
	;; [unrolled: 1-line block ×10, first 2 shown]
	ds_read2_b64 v[58:61], v52 offset0:64 offset1:96
	v_pk_fma_f16 v85, v65, v91, v85
	v_pk_fma_f16 v66, v65, v68, v66
	;; [unrolled: 1-line block ×3, first 2 shown]
	v_mul_u32_u24_sdwa v88, v74, v47 dst_sel:DWORD dst_unused:UNUSED_PAD src0_sel:WORD_0 src1_sel:DWORD
	v_mul_u32_u24_sdwa v74, v74, v47 dst_sel:DWORD dst_unused:UNUSED_PAD src0_sel:WORD_1 src1_sel:DWORD
	v_mul_u32_u24_sdwa v91, v75, v47 dst_sel:DWORD dst_unused:UNUSED_PAD src0_sel:WORD_0 src1_sel:DWORD
	v_mul_u32_u24_sdwa v75, v75, v47 dst_sel:DWORD dst_unused:UNUSED_PAD src0_sel:WORD_1 src1_sel:DWORD
	v_pk_fma_f16 v67, v65, v69, v67
	s_waitcnt lgkmcnt(1)
	v_pk_fma_f16 v69, v54, v88, v86
	v_pk_fma_f16 v86, v54, v74, v89
	;; [unrolled: 1-line block ×16, first 2 shown]
	s_waitcnt lgkmcnt(0)
	v_pk_fma_f16 v100, v58, v88, v102
	v_pk_fma_f16 v101, v58, v74, v103
	ds_read2_b64 v[54:57], v52 offset0:128 offset1:160
	v_pk_fma_f16 v102, v58, v91, v106
	v_pk_fma_f16 v58, v58, v75, v62
	v_pk_fma_f16 v83, v59, v88, v83
	v_pk_fma_f16 v78, v59, v74, v78
	v_pk_fma_f16 v103, v59, v91, v104
	v_pk_fma_f16 v59, v59, v75, v63
	v_pk_fma_f16 v84, v60, v88, v84
	v_pk_fma_f16 v104, v60, v74, v105
	v_pk_fma_f16 v90, v60, v91, v90
	v_pk_fma_f16 v60, v60, v75, v64
	ds_read2_b64 v[62:65], v52 offset0:192 offset1:224
	v_pk_fma_f16 v85, v61, v88, v85
	v_pk_fma_f16 v66, v61, v74, v66
	v_mul_u32_u24_sdwa v74, v76, v47 dst_sel:DWORD dst_unused:UNUSED_PAD src0_sel:WORD_0 src1_sel:DWORD
	v_mul_u32_u24_sdwa v76, v76, v47 dst_sel:DWORD dst_unused:UNUSED_PAD src0_sel:WORD_1 src1_sel:DWORD
	v_mul_u32_u24_sdwa v88, v77, v47 dst_sel:DWORD dst_unused:UNUSED_PAD src0_sel:WORD_0 src1_sel:DWORD
	v_mul_u32_u24_sdwa v77, v77, v47 dst_sel:DWORD dst_unused:UNUSED_PAD src0_sel:WORD_1 src1_sel:DWORD
	v_pk_fma_f16 v68, v61, v91, v68
	v_pk_fma_f16 v67, v61, v75, v67
	s_waitcnt lgkmcnt(1)
	v_pk_fma_f16 v75, v54, v76, v86
	v_pk_fma_f16 v86, v54, v88, v89
	;; [unrolled: 1-line block ×11, first 2 shown]
	s_waitcnt lgkmcnt(0)
	v_pk_fma_f16 v98, v62, v74, v100
	v_pk_fma_f16 v99, v62, v76, v101
	;; [unrolled: 1-line block ×9, first 2 shown]
	ds_read2_b64 v[58:61], v53 offset0:64 offset1:96
	v_pk_fma_f16 v71, v55, v76, v71
	v_pk_fma_f16 v72, v55, v88, v72
	;; [unrolled: 1-line block ×5, first 2 shown]
	ds_read2_b64 v[54:57], v53 offset1:32
	s_or_b32 s0, s8, 0x70
	v_mul_u32_u24_sdwa v179, v5, v47 dst_sel:DWORD dst_unused:UNUSED_PAD src0_sel:WORD_0 src1_sel:DWORD
	s_mul_hi_i32 s19, s0, s9
	s_mul_i32 s18, s0, s9
	v_mul_u32_u24_sdwa v180, v5, v47 dst_sel:DWORD dst_unused:UNUSED_PAD src0_sel:WORD_1 src1_sel:DWORD
	s_lshl_b64 s[18:19], s[18:19], 2
	v_mul_u32_u24_sdwa v181, v6, v47 dst_sel:DWORD dst_unused:UNUSED_PAD src0_sel:WORD_0 src1_sel:DWORD
	v_mul_u32_u24_sdwa v182, v6, v47 dst_sel:DWORD dst_unused:UNUSED_PAD src0_sel:WORD_1 src1_sel:DWORD
	s_add_u32 s0, s12, s18
	s_addc_u32 s15, s13, s19
	v_add_co_u32 v5, vcc_lo, s0, v27
	v_add_co_ci_u32_e64 v6, null, s15, v28, vcc_lo
	s_waitcnt lgkmcnt(1)
	v_pk_fma_f16 v195, v58, v179, v98
	v_pk_fma_f16 v196, v58, v180, v99
	v_pk_fma_f16 v197, v58, v181, v100
	v_pk_fma_f16 v198, v58, v182, v62
	v_add_co_u32 v58, vcc_lo, s0, v29
	v_pk_fma_f16 v199, v59, v179, v83
	v_pk_fma_f16 v78, v59, v180, v78
	;; [unrolled: 1-line block ×4, first 2 shown]
	v_add_co_ci_u32_e64 v59, null, s15, v30, vcc_lo
	v_add_co_u32 v5, vcc_lo, v5, v87
	v_add_co_ci_u32_e64 v6, null, 0, v6, vcc_lo
	v_add_co_u32 v58, vcc_lo, v58, v87
	v_add_co_ci_u32_e64 v59, null, 0, v59, vcc_lo
	v_pk_fma_f16 v172, v64, v74, v84
	v_pk_fma_f16 v173, v64, v76, v104
	;; [unrolled: 1-line block ×7, first 2 shown]
	s_waitcnt lgkmcnt(0)
	v_pk_fma_f16 v184, v54, v179, v69
	v_pk_fma_f16 v185, v54, v180, v75
	;; [unrolled: 1-line block ×16, first 2 shown]
	ds_read2_b64 v[54:57], v53 offset0:128 offset1:160
	ds_read2_b64 v[62:65], v53 offset0:192 offset1:224
	ds_read2_b64 v[66:69], v51 offset1:32
	ds_read2_b64 v[74:77], v51 offset0:64 offset1:96
	ds_read2_b64 v[83:86], v51 offset0:128 offset1:160
	;; [unrolled: 1-line block ×3, first 2 shown]
	ds_read2_b64 v[92:95], v50 offset1:32
	ds_read2_b64 v[96:99], v50 offset0:64 offset1:96
	ds_read_b128 v[100:103], v41 offset:832
	ds_read_b128 v[104:107], v41 offset:848
	ds_read2_b64 v[108:111], v50 offset0:128 offset1:160
	ds_read2_b64 v[112:115], v50 offset0:192 offset1:224
	ds_read2_b64 v[116:119], v49 offset1:32
	ds_read2_b64 v[120:123], v49 offset0:64 offset1:96
	ds_read2_b64 v[124:127], v49 offset0:128 offset1:160
	;; [unrolled: 1-line block ×3, first 2 shown]
	ds_read2_b64 v[132:135], v48 offset1:32
	ds_read2_b64 v[136:139], v48 offset0:64 offset1:96
	ds_read_b128 v[140:143], v41 offset:864
	ds_read_b128 v[144:147], v41 offset:880
	ds_read2_b64 v[148:151], v48 offset0:128 offset1:160
	ds_read2_b64 v[152:155], v48 offset0:192 offset1:224
	s_waitcnt lgkmcnt(0)
	s_barrier
	buffer_gl0_inv
	s_clause 0x3
	global_load_dwordx4 v[156:159], v[5:6], off
	global_load_dwordx4 v[160:163], v[5:6], off offset:512
	global_load_dwordx4 v[164:167], v[58:59], off
	global_load_dwordx4 v[168:171], v[58:59], off offset:512
	v_pk_fma_f16 v5, v60, v179, v172
	v_pk_fma_f16 v6, v60, v180, v173
	;; [unrolled: 1-line block ×7, first 2 shown]
	v_mul_u32_u24_sdwa v173, v7, v47 dst_sel:DWORD dst_unused:UNUSED_PAD src0_sel:WORD_0 src1_sel:DWORD
	v_mul_u32_u24_sdwa v7, v7, v47 dst_sel:DWORD dst_unused:UNUSED_PAD src0_sel:WORD_1 src1_sel:DWORD
	v_mul_u32_u24_sdwa v174, v8, v47 dst_sel:DWORD dst_unused:UNUSED_PAD src0_sel:WORD_0 src1_sel:DWORD
	v_mul_u32_u24_sdwa v8, v8, v47 dst_sel:DWORD dst_unused:UNUSED_PAD src0_sel:WORD_1 src1_sel:DWORD
	v_pk_fma_f16 v61, v61, v182, v183
	v_pk_fma_f16 v175, v54, v173, v184
	;; [unrolled: 1-line block ×32, first 2 shown]
	v_mul_u32_u24_sdwa v87, v100, v47 dst_sel:DWORD dst_unused:UNUSED_PAD src0_sel:WORD_0 src1_sel:DWORD
	v_mul_u32_u24_sdwa v100, v100, v47 dst_sel:DWORD dst_unused:UNUSED_PAD src0_sel:WORD_1 src1_sel:DWORD
	v_mul_u32_u24_sdwa v172, v101, v47 dst_sel:DWORD dst_unused:UNUSED_PAD src0_sel:WORD_0 src1_sel:DWORD
	v_mul_u32_u24_sdwa v101, v101, v47 dst_sel:DWORD dst_unused:UNUSED_PAD src0_sel:WORD_1 src1_sel:DWORD
	v_pk_fma_f16 v8, v65, v8, v61
	v_pk_fma_f16 v61, v66, v87, v175
	;; [unrolled: 1-line block ×31, first 2 shown]
	v_mul_u32_u24_sdwa v75, v102, v47 dst_sel:DWORD dst_unused:UNUSED_PAD src0_sel:WORD_0 src1_sel:DWORD
	v_mul_u32_u24_sdwa v76, v102, v47 dst_sel:DWORD dst_unused:UNUSED_PAD src0_sel:WORD_1 src1_sel:DWORD
	v_mul_u32_u24_sdwa v87, v103, v47 dst_sel:DWORD dst_unused:UNUSED_PAD src0_sel:WORD_0 src1_sel:DWORD
	v_mul_u32_u24_sdwa v100, v103, v47 dst_sel:DWORD dst_unused:UNUSED_PAD src0_sel:WORD_1 src1_sel:DWORD
	v_pk_fma_f16 v8, v77, v101, v8
	v_pk_fma_f16 v64, v77, v172, v64
	;; [unrolled: 1-line block ×29, first 2 shown]
	v_mul_u32_u24_sdwa v75, v104, v47 dst_sel:DWORD dst_unused:UNUSED_PAD src0_sel:WORD_0 src1_sel:DWORD
	v_mul_u32_u24_sdwa v76, v104, v47 dst_sel:DWORD dst_unused:UNUSED_PAD src0_sel:WORD_1 src1_sel:DWORD
	v_mul_u32_u24_sdwa v88, v105, v47 dst_sel:DWORD dst_unused:UNUSED_PAD src0_sel:WORD_1 src1_sel:DWORD
	v_pk_fma_f16 v8, v91, v100, v8
	v_pk_fma_f16 v80, v86, v87, v80
	;; [unrolled: 1-line block ×26, first 2 shown]
	v_mul_u32_u24_sdwa v75, v106, v47 dst_sel:DWORD dst_unused:UNUSED_PAD src0_sel:WORD_0 src1_sel:DWORD
	v_mul_u32_u24_sdwa v76, v106, v47 dst_sel:DWORD dst_unused:UNUSED_PAD src0_sel:WORD_1 src1_sel:DWORD
	v_mul_u32_u24_sdwa v89, v107, v47 dst_sel:DWORD dst_unused:UNUSED_PAD src0_sel:WORD_1 src1_sel:DWORD
	v_pk_fma_f16 v8, v99, v88, v8
	v_mul_u32_u24_sdwa v88, v141, v47 dst_sel:DWORD dst_unused:UNUSED_PAD src0_sel:WORD_1 src1_sel:DWORD
	v_pk_fma_f16 v61, v108, v75, v61
	v_pk_fma_f16 v65, v108, v76, v65
	;; [unrolled: 1-line block ×23, first 2 shown]
	v_mul_u32_u24_sdwa v75, v140, v47 dst_sel:DWORD dst_unused:UNUSED_PAD src0_sel:WORD_0 src1_sel:DWORD
	v_mul_u32_u24_sdwa v76, v140, v47 dst_sel:DWORD dst_unused:UNUSED_PAD src0_sel:WORD_1 src1_sel:DWORD
	v_pk_fma_f16 v8, v115, v89, v8
	v_pk_fma_f16 v58, v90, v87, v58
	;; [unrolled: 1-line block ×3, first 2 shown]
	v_mul_u32_u24_sdwa v87, v105, v47 dst_sel:DWORD dst_unused:UNUSED_PAD src0_sel:WORD_0 src1_sel:DWORD
	v_pk_fma_f16 v61, v116, v75, v61
	v_pk_fma_f16 v65, v116, v76, v65
	;; [unrolled: 1-line block ×23, first 2 shown]
	v_mul_u32_u24_sdwa v75, v142, v47 dst_sel:DWORD dst_unused:UNUSED_PAD src0_sel:WORD_0 src1_sel:DWORD
	v_mul_u32_u24_sdwa v76, v142, v47 dst_sel:DWORD dst_unused:UNUSED_PAD src0_sel:WORD_1 src1_sel:DWORD
	v_mul_u32_u24_sdwa v89, v143, v47 dst_sel:DWORD dst_unused:UNUSED_PAD src0_sel:WORD_1 src1_sel:DWORD
	v_pk_fma_f16 v8, v123, v88, v8
	v_pk_fma_f16 v77, v92, v87, v77
	;; [unrolled: 1-line block ×9, first 2 shown]
	v_mul_u32_u24_sdwa v87, v107, v47 dst_sel:DWORD dst_unused:UNUSED_PAD src0_sel:WORD_0 src1_sel:DWORD
	v_pk_fma_f16 v61, v124, v75, v61
	v_pk_fma_f16 v65, v124, v76, v65
	v_pk_fma_f16 v54, v124, v89, v54
	v_pk_fma_f16 v66, v125, v75, v66
	v_pk_fma_f16 v71, v125, v76, v71
	v_pk_fma_f16 v55, v125, v89, v55
	v_pk_fma_f16 v67, v126, v75, v67
	v_pk_fma_f16 v79, v126, v76, v79
	v_pk_fma_f16 v56, v126, v89, v56
	v_pk_fma_f16 v68, v127, v75, v68
	v_pk_fma_f16 v70, v127, v76, v70
	v_pk_fma_f16 v57, v127, v89, v57
	v_pk_fma_f16 v69, v128, v75, v69
	v_pk_fma_f16 v84, v128, v76, v84
	v_pk_fma_f16 v62, v128, v89, v62
	v_pk_fma_f16 v74, v129, v75, v74
	v_pk_fma_f16 v78, v129, v76, v78
	v_pk_fma_f16 v63, v129, v89, v63
	v_pk_fma_f16 v5, v130, v75, v5
	v_pk_fma_f16 v6, v130, v76, v6
	v_pk_fma_f16 v59, v130, v89, v59
	v_pk_fma_f16 v60, v131, v75, v60
	v_pk_fma_f16 v7, v131, v76, v7
	v_mul_u32_u24_sdwa v75, v144, v47 dst_sel:DWORD dst_unused:UNUSED_PAD src0_sel:WORD_0 src1_sel:DWORD
	v_mul_u32_u24_sdwa v76, v144, v47 dst_sel:DWORD dst_unused:UNUSED_PAD src0_sel:WORD_1 src1_sel:DWORD
	v_mul_u32_u24_sdwa v88, v145, v47 dst_sel:DWORD dst_unused:UNUSED_PAD src0_sel:WORD_1 src1_sel:DWORD
	v_pk_fma_f16 v8, v131, v89, v8
	v_pk_fma_f16 v77, v108, v87, v77
	;; [unrolled: 1-line block ×9, first 2 shown]
	v_mul_u32_u24_sdwa v87, v141, v47 dst_sel:DWORD dst_unused:UNUSED_PAD src0_sel:WORD_0 src1_sel:DWORD
	v_pk_fma_f16 v61, v132, v75, v61
	v_pk_fma_f16 v54, v132, v88, v54
	;; [unrolled: 1-line block ×17, first 2 shown]
	v_mul_u32_u24_sdwa v92, v147, v47 dst_sel:DWORD dst_unused:UNUSED_PAD src0_sel:WORD_1 src1_sel:DWORD
	v_pk_fma_f16 v88, v139, v88, v8
	s_waitcnt vmcnt(3)
	ds_write_b128 v42, v[156:159]
	s_waitcnt vmcnt(2)
	ds_write_b128 v43, v[160:163]
	;; [unrolled: 2-line block ×4, first 2 shown]
	s_waitcnt lgkmcnt(0)
	s_barrier
	buffer_gl0_inv
	ds_read_b128 v[5:8], v41 offset:896
	v_pk_fma_f16 v77, v116, v87, v77
	v_pk_fma_f16 v72, v117, v87, v72
	;; [unrolled: 1-line block ×8, first 2 shown]
	v_mul_u32_u24_sdwa v87, v143, v47 dst_sel:DWORD dst_unused:UNUSED_PAD src0_sel:WORD_0 src1_sel:DWORD
	v_pk_fma_f16 v96, v148, v92, v54
	v_pk_fma_f16 v98, v149, v92, v55
	;; [unrolled: 1-line block ×4, first 2 shown]
	ds_read2_b64 v[54:57], v82 offset1:32
	v_pk_fma_f16 v77, v124, v87, v77
	v_pk_fma_f16 v72, v125, v87, v72
	;; [unrolled: 1-line block ×8, first 2 shown]
	v_mul_u32_u24_sdwa v87, v145, v47 dst_sel:DWORD dst_unused:UNUSED_PAD src0_sel:WORD_0 src1_sel:DWORD
	v_pk_fma_f16 v65, v132, v76, v65
	v_pk_fma_f16 v71, v133, v76, v71
	;; [unrolled: 1-line block ×14, first 2 shown]
	v_mul_u32_u24_sdwa v76, v146, v47 dst_sel:DWORD dst_unused:UNUSED_PAD src0_sel:WORD_0 src1_sel:DWORD
	v_mul_u32_u24_sdwa v87, v146, v47 dst_sel:DWORD dst_unused:UNUSED_PAD src0_sel:WORD_1 src1_sel:DWORD
	v_mul_u32_u24_sdwa v91, v147, v47 dst_sel:DWORD dst_unused:UNUSED_PAD src0_sel:WORD_0 src1_sel:DWORD
	v_pk_fma_f16 v104, v152, v92, v62
	v_pk_fma_f16 v106, v153, v92, v63
	;; [unrolled: 1-line block ×14, first 2 shown]
	ds_read2_b64 v[58:61], v82 offset0:64 offset1:96
	ds_read_b128 v[62:65], v41 offset:912
	v_pk_fma_f16 v97, v149, v76, v66
	v_pk_fma_f16 v71, v149, v87, v71
	v_pk_fma_f16 v99, v150, v76, v67
	v_pk_fma_f16 v79, v150, v87, v79
	v_pk_fma_f16 v101, v151, v76, v68
	v_pk_fma_f16 v70, v151, v87, v70
	v_pk_fma_f16 v88, v155, v92, v88
	s_waitcnt lgkmcnt(3)
	v_mul_u32_u24_sdwa v92, v5, v47 dst_sel:DWORD dst_unused:UNUSED_PAD src0_sel:WORD_0 src1_sel:DWORD
	v_mul_u32_u24_sdwa v5, v5, v47 dst_sel:DWORD dst_unused:UNUSED_PAD src0_sel:WORD_1 src1_sel:DWORD
	v_mul_u32_u24_sdwa v110, v6, v47 dst_sel:DWORD dst_unused:UNUSED_PAD src0_sel:WORD_0 src1_sel:DWORD
	v_mul_u32_u24_sdwa v6, v6, v47 dst_sel:DWORD dst_unused:UNUSED_PAD src0_sel:WORD_1 src1_sel:DWORD
	v_pk_fma_f16 v103, v152, v76, v69
	v_pk_fma_f16 v84, v152, v87, v84
	;; [unrolled: 1-line block ×7, first 2 shown]
	ds_read_b128 v[66:69], v41 offset:928
	ds_read_b128 v[74:77], v41 offset:944
	s_waitcnt lgkmcnt(4)
	v_pk_fma_f16 v93, v54, v92, v93
	v_pk_fma_f16 v94, v54, v5, v94
	v_pk_fma_f16 v95, v54, v110, v95
	v_pk_fma_f16 v96, v54, v6, v96
	v_pk_fma_f16 v97, v55, v92, v97
	v_pk_fma_f16 v71, v55, v5, v71
	v_pk_fma_f16 v72, v55, v110, v72
	v_pk_fma_f16 v98, v55, v6, v98
	v_pk_fma_f16 v99, v56, v92, v99
	v_pk_fma_f16 v79, v56, v5, v79
	v_pk_fma_f16 v111, v56, v110, v83
	v_pk_fma_f16 v100, v56, v6, v100
	v_pk_fma_f16 v101, v57, v92, v101
	v_pk_fma_f16 v70, v57, v5, v70
	v_pk_fma_f16 v80, v57, v110, v80
	v_pk_fma_f16 v102, v57, v6, v102
	ds_read2_b64 v[54:57], v82 offset0:128 offset1:160
	s_waitcnt lgkmcnt(4)
	v_pk_fma_f16 v112, v58, v5, v84
	v_pk_fma_f16 v113, v58, v110, v85
	ds_read2_b64 v[82:85], v82 offset0:192 offset1:224
	v_pk_fma_f16 v103, v58, v92, v103
	v_pk_fma_f16 v58, v58, v6, v104
	;; [unrolled: 1-line block ×11, first 2 shown]
	v_mul_u32_u24_sdwa v106, v7, v47 dst_sel:DWORD dst_unused:UNUSED_PAD src0_sel:WORD_0 src1_sel:DWORD
	v_mul_u32_u24_sdwa v107, v7, v47 dst_sel:DWORD dst_unused:UNUSED_PAD src0_sel:WORD_1 src1_sel:DWORD
	v_mul_u32_u24_sdwa v108, v8, v47 dst_sel:DWORD dst_unused:UNUSED_PAD src0_sel:WORD_0 src1_sel:DWORD
	v_mul_u32_u24_sdwa v109, v8, v47 dst_sel:DWORD dst_unused:UNUSED_PAD src0_sel:WORD_1 src1_sel:DWORD
	v_pk_fma_f16 v87, v61, v5, v87
	v_pk_fma_f16 v91, v61, v110, v91
	;; [unrolled: 1-line block ×3, first 2 shown]
	ds_read2_b64 v[5:8], v81 offset1:32
	s_waitcnt lgkmcnt(2)
	v_pk_fma_f16 v88, v54, v106, v93
	v_pk_fma_f16 v93, v54, v107, v94
	;; [unrolled: 1-line block ×16, first 2 shown]
	ds_read2_b64 v[54:57], v81 offset0:64 offset1:96
	s_waitcnt lgkmcnt(2)
	v_pk_fma_f16 v103, v82, v106, v103
	v_pk_fma_f16 v110, v82, v107, v112
	;; [unrolled: 1-line block ×13, first 2 shown]
	v_mul_u32_u24_sdwa v92, v62, v47 dst_sel:DWORD dst_unused:UNUSED_PAD src0_sel:WORD_0 src1_sel:DWORD
	v_mul_u32_u24_sdwa v62, v62, v47 dst_sel:DWORD dst_unused:UNUSED_PAD src0_sel:WORD_1 src1_sel:DWORD
	v_mul_u32_u24_sdwa v104, v63, v47 dst_sel:DWORD dst_unused:UNUSED_PAD src0_sel:WORD_0 src1_sel:DWORD
	v_mul_u32_u24_sdwa v63, v63, v47 dst_sel:DWORD dst_unused:UNUSED_PAD src0_sel:WORD_1 src1_sel:DWORD
	v_pk_fma_f16 v87, v85, v107, v87
	s_waitcnt lgkmcnt(1)
	v_pk_fma_f16 v88, v5, v92, v88
	v_pk_fma_f16 v93, v5, v62, v93
	;; [unrolled: 1-line block ×16, first 2 shown]
	ds_read2_b64 v[5:8], v81 offset0:128 offset1:160
	v_pk_fma_f16 v91, v85, v108, v91
	v_pk_fma_f16 v85, v85, v109, v61
	s_waitcnt lgkmcnt(1)
	v_pk_fma_f16 v103, v54, v92, v103
	v_pk_fma_f16 v105, v54, v62, v110
	;; [unrolled: 1-line block ×12, first 2 shown]
	ds_read2_b64 v[58:61], v81 offset0:192 offset1:224
	v_pk_fma_f16 v62, v57, v62, v87
	v_pk_fma_f16 v87, v57, v104, v91
	v_mul_u32_u24_sdwa v81, v64, v47 dst_sel:DWORD dst_unused:UNUSED_PAD src0_sel:WORD_0 src1_sel:DWORD
	v_mul_u32_u24_sdwa v64, v64, v47 dst_sel:DWORD dst_unused:UNUSED_PAD src0_sel:WORD_1 src1_sel:DWORD
	v_mul_u32_u24_sdwa v91, v65, v47 dst_sel:DWORD dst_unused:UNUSED_PAD src0_sel:WORD_0 src1_sel:DWORD
	v_mul_u32_u24_sdwa v65, v65, v47 dst_sel:DWORD dst_unused:UNUSED_PAD src0_sel:WORD_1 src1_sel:DWORD
	v_pk_fma_f16 v84, v57, v92, v84
	v_pk_fma_f16 v63, v57, v63, v85
	s_waitcnt lgkmcnt(1)
	v_pk_fma_f16 v85, v5, v81, v88
	v_pk_fma_f16 v88, v5, v64, v93
	;; [unrolled: 1-line block ×16, first 2 shown]
	ds_read2_b64 v[5:8], v52 offset1:32
	s_waitcnt lgkmcnt(1)
	v_pk_fma_f16 v101, v58, v81, v103
	v_pk_fma_f16 v102, v58, v64, v105
	;; [unrolled: 1-line block ×12, first 2 shown]
	ds_read2_b64 v[54:57], v52 offset0:64 offset1:96
	v_pk_fma_f16 v81, v61, v81, v84
	v_pk_fma_f16 v62, v61, v64, v62
	;; [unrolled: 1-line block ×3, first 2 shown]
	v_mul_u32_u24_sdwa v84, v66, v47 dst_sel:DWORD dst_unused:UNUSED_PAD src0_sel:WORD_0 src1_sel:DWORD
	v_mul_u32_u24_sdwa v66, v66, v47 dst_sel:DWORD dst_unused:UNUSED_PAD src0_sel:WORD_1 src1_sel:DWORD
	v_mul_u32_u24_sdwa v87, v67, v47 dst_sel:DWORD dst_unused:UNUSED_PAD src0_sel:WORD_0 src1_sel:DWORD
	v_mul_u32_u24_sdwa v67, v67, v47 dst_sel:DWORD dst_unused:UNUSED_PAD src0_sel:WORD_1 src1_sel:DWORD
	v_pk_fma_f16 v63, v61, v65, v63
	s_waitcnt lgkmcnt(1)
	v_pk_fma_f16 v65, v5, v84, v85
	v_pk_fma_f16 v85, v5, v66, v88
	;; [unrolled: 1-line block ×16, first 2 shown]
	ds_read2_b64 v[5:8], v52 offset0:128 offset1:160
	s_waitcnt lgkmcnt(1)
	v_pk_fma_f16 v99, v54, v84, v101
	v_pk_fma_f16 v100, v54, v66, v102
	;; [unrolled: 1-line block ×12, first 2 shown]
	ds_read2_b64 v[58:61], v52 offset0:192 offset1:224
	v_pk_fma_f16 v62, v57, v66, v62
	v_mul_u32_u24_sdwa v52, v68, v47 dst_sel:DWORD dst_unused:UNUSED_PAD src0_sel:WORD_0 src1_sel:DWORD
	v_mul_u32_u24_sdwa v66, v68, v47 dst_sel:DWORD dst_unused:UNUSED_PAD src0_sel:WORD_1 src1_sel:DWORD
	v_mul_u32_u24_sdwa v68, v69, v47 dst_sel:DWORD dst_unused:UNUSED_PAD src0_sel:WORD_0 src1_sel:DWORD
	v_mul_u32_u24_sdwa v69, v69, v47 dst_sel:DWORD dst_unused:UNUSED_PAD src0_sel:WORD_1 src1_sel:DWORD
	v_pk_fma_f16 v81, v57, v84, v81
	v_pk_fma_f16 v64, v57, v87, v64
	;; [unrolled: 1-line block ×3, first 2 shown]
	s_waitcnt lgkmcnt(1)
	v_pk_fma_f16 v65, v5, v52, v65
	v_pk_fma_f16 v67, v5, v66, v85
	v_pk_fma_f16 v84, v5, v68, v88
	v_pk_fma_f16 v85, v5, v69, v91
	v_pk_fma_f16 v87, v6, v52, v92
	v_pk_fma_f16 v71, v6, v66, v71
	v_pk_fma_f16 v72, v6, v68, v72
	v_pk_fma_f16 v88, v6, v69, v93
	v_pk_fma_f16 v91, v7, v52, v94
	v_pk_fma_f16 v79, v7, v66, v79
	v_pk_fma_f16 v92, v7, v68, v95
	v_pk_fma_f16 v93, v7, v69, v96
	v_pk_fma_f16 v94, v8, v52, v97
	v_pk_fma_f16 v70, v8, v66, v70
	v_pk_fma_f16 v80, v8, v68, v80
	v_pk_fma_f16 v95, v8, v69, v98
	ds_read2_b64 v[5:8], v53 offset1:32
	s_waitcnt lgkmcnt(1)
	v_pk_fma_f16 v96, v58, v52, v99
	v_pk_fma_f16 v97, v58, v66, v100
	v_pk_fma_f16 v98, v58, v68, v101
	v_pk_fma_f16 v58, v58, v69, v54
	v_pk_fma_f16 v82, v59, v52, v82
	v_pk_fma_f16 v78, v59, v66, v78
	v_pk_fma_f16 v86, v59, v68, v86
	v_pk_fma_f16 v59, v59, v69, v55
	v_pk_fma_f16 v83, v60, v52, v83
	v_pk_fma_f16 v89, v60, v66, v89
	v_pk_fma_f16 v90, v60, v68, v90
	v_pk_fma_f16 v60, v60, v69, v56
	ds_read2_b64 v[54:57], v53 offset0:64 offset1:96
	v_pk_fma_f16 v62, v61, v66, v62
	v_pk_fma_f16 v64, v61, v68, v64
	v_mul_u32_u24_sdwa v66, v74, v47 dst_sel:DWORD dst_unused:UNUSED_PAD src0_sel:WORD_0 src1_sel:DWORD
	v_mul_u32_u24_sdwa v68, v74, v47 dst_sel:DWORD dst_unused:UNUSED_PAD src0_sel:WORD_1 src1_sel:DWORD
	v_mul_u32_u24_sdwa v74, v75, v47 dst_sel:DWORD dst_unused:UNUSED_PAD src0_sel:WORD_0 src1_sel:DWORD
	v_mul_u32_u24_sdwa v75, v75, v47 dst_sel:DWORD dst_unused:UNUSED_PAD src0_sel:WORD_1 src1_sel:DWORD
	v_pk_fma_f16 v52, v61, v52, v81
	v_pk_fma_f16 v61, v61, v69, v63
	s_waitcnt lgkmcnt(1)
	v_pk_fma_f16 v63, v5, v66, v65
	v_pk_fma_f16 v65, v5, v68, v67
	;; [unrolled: 1-line block ×16, first 2 shown]
	ds_read2_b64 v[5:8], v53 offset0:128 offset1:160
	s_waitcnt lgkmcnt(1)
	v_pk_fma_f16 v93, v54, v66, v96
	v_pk_fma_f16 v94, v54, v68, v97
	;; [unrolled: 1-line block ×10, first 2 shown]
	ds_read2_b64 v[52:55], v53 offset0:192 offset1:224
	v_pk_fma_f16 v89, v56, v68, v89
	v_pk_fma_f16 v90, v56, v74, v90
	;; [unrolled: 1-line block ×5, first 2 shown]
	v_mul_u32_u24_sdwa v68, v76, v47 dst_sel:DWORD dst_unused:UNUSED_PAD src0_sel:WORD_0 src1_sel:DWORD
	v_mul_u32_u24_sdwa v74, v76, v47 dst_sel:DWORD dst_unused:UNUSED_PAD src0_sel:WORD_1 src1_sel:DWORD
	v_mul_u32_u24_sdwa v76, v77, v47 dst_sel:DWORD dst_unused:UNUSED_PAD src0_sel:WORD_0 src1_sel:DWORD
	v_mul_u32_u24_sdwa v77, v77, v47 dst_sel:DWORD dst_unused:UNUSED_PAD src0_sel:WORD_1 src1_sel:DWORD
	v_pk_fma_f16 v75, v57, v75, v61
	ds_read_b128 v[56:59], v41 offset:960
	s_waitcnt lgkmcnt(2)
	v_pk_fma_f16 v98, v5, v68, v63
	v_pk_fma_f16 v99, v5, v74, v65
	;; [unrolled: 1-line block ×16, first 2 shown]
	ds_read2_b64 v[5:8], v51 offset1:32
	s_waitcnt lgkmcnt(2)
	v_pk_fma_f16 v93, v52, v68, v93
	v_pk_fma_f16 v94, v52, v74, v94
	v_pk_fma_f16 v95, v52, v76, v95
	v_pk_fma_f16 v82, v53, v68, v82
	v_pk_fma_f16 v78, v53, v74, v78
	v_pk_fma_f16 v86, v53, v76, v86
	v_pk_fma_f16 v83, v54, v68, v83
	v_pk_fma_f16 v89, v54, v74, v89
	v_pk_fma_f16 v90, v54, v76, v90
	v_pk_fma_f16 v54, v54, v77, v60
	v_pk_fma_f16 v68, v55, v68, v66
	v_pk_fma_f16 v74, v55, v74, v62
	v_pk_fma_f16 v76, v55, v76, v64
	ds_read2_b64 v[60:63], v51 offset0:64 offset1:96
	ds_read_b128 v[64:67], v41 offset:976
	v_pk_fma_f16 v52, v52, v77, v96
	v_pk_fma_f16 v53, v53, v77, v97
	s_waitcnt lgkmcnt(3)
	v_mul_u32_u24_sdwa v96, v56, v47 dst_sel:DWORD dst_unused:UNUSED_PAD src0_sel:WORD_0 src1_sel:DWORD
	v_mul_u32_u24_sdwa v56, v56, v47 dst_sel:DWORD dst_unused:UNUSED_PAD src0_sel:WORD_1 src1_sel:DWORD
	v_mul_u32_u24_sdwa v97, v57, v47 dst_sel:DWORD dst_unused:UNUSED_PAD src0_sel:WORD_0 src1_sel:DWORD
	v_mul_u32_u24_sdwa v57, v57, v47 dst_sel:DWORD dst_unused:UNUSED_PAD src0_sel:WORD_1 src1_sel:DWORD
	v_pk_fma_f16 v55, v55, v77, v75
	s_waitcnt lgkmcnt(2)
	v_pk_fma_f16 v75, v5, v96, v98
	v_pk_fma_f16 v77, v5, v56, v99
	;; [unrolled: 1-line block ×16, first 2 shown]
	ds_read2_b64 v[5:8], v51 offset0:128 offset1:160
	s_waitcnt lgkmcnt(2)
	v_pk_fma_f16 v93, v60, v96, v93
	v_pk_fma_f16 v94, v60, v56, v94
	;; [unrolled: 1-line block ×12, first 2 shown]
	ds_read2_b64 v[51:54], v51 offset0:192 offset1:224
	v_pk_fma_f16 v68, v63, v96, v68
	v_pk_fma_f16 v56, v63, v56, v74
	;; [unrolled: 1-line block ×3, first 2 shown]
	v_mul_u32_u24_sdwa v76, v58, v47 dst_sel:DWORD dst_unused:UNUSED_PAD src0_sel:WORD_0 src1_sel:DWORD
	v_mul_u32_u24_sdwa v58, v58, v47 dst_sel:DWORD dst_unused:UNUSED_PAD src0_sel:WORD_1 src1_sel:DWORD
	v_mul_u32_u24_sdwa v96, v59, v47 dst_sel:DWORD dst_unused:UNUSED_PAD src0_sel:WORD_0 src1_sel:DWORD
	v_mul_u32_u24_sdwa v59, v59, v47 dst_sel:DWORD dst_unused:UNUSED_PAD src0_sel:WORD_1 src1_sel:DWORD
	v_pk_fma_f16 v63, v63, v57, v55
	s_waitcnt lgkmcnt(1)
	v_pk_fma_f16 v75, v5, v76, v75
	v_pk_fma_f16 v77, v5, v58, v77
	;; [unrolled: 1-line block ×16, first 2 shown]
	ds_read2_b64 v[5:8], v50 offset1:32
	s_waitcnt lgkmcnt(1)
	v_pk_fma_f16 v93, v51, v76, v93
	v_pk_fma_f16 v94, v51, v58, v94
	;; [unrolled: 1-line block ×14, first 2 shown]
	ds_read2_b64 v[55:58], v50 offset0:64 offset1:96
	v_mul_u32_u24_sdwa v76, v64, v47 dst_sel:DWORD dst_unused:UNUSED_PAD src0_sel:WORD_0 src1_sel:DWORD
	v_mul_u32_u24_sdwa v64, v64, v47 dst_sel:DWORD dst_unused:UNUSED_PAD src0_sel:WORD_1 src1_sel:DWORD
	v_mul_u32_u24_sdwa v89, v65, v47 dst_sel:DWORD dst_unused:UNUSED_PAD src0_sel:WORD_0 src1_sel:DWORD
	v_mul_u32_u24_sdwa v65, v65, v47 dst_sel:DWORD dst_unused:UNUSED_PAD src0_sel:WORD_1 src1_sel:DWORD
	v_pk_fma_f16 v74, v54, v96, v74
	v_pk_fma_f16 v54, v54, v59, v63
	s_waitcnt lgkmcnt(1)
	v_pk_fma_f16 v59, v5, v76, v75
	v_pk_fma_f16 v63, v5, v64, v77
	;; [unrolled: 1-line block ×16, first 2 shown]
	ds_read2_b64 v[5:8], v50 offset0:128 offset1:160
	s_waitcnt lgkmcnt(1)
	v_pk_fma_f16 v91, v55, v76, v93
	v_pk_fma_f16 v92, v55, v64, v94
	;; [unrolled: 1-line block ×6, first 2 shown]
	ds_read2_b64 v[50:53], v50 offset0:192 offset1:224
	v_pk_fma_f16 v60, v56, v76, v60
	v_pk_fma_f16 v78, v56, v64, v78
	;; [unrolled: 1-line block ×9, first 2 shown]
	v_mul_u32_u24_sdwa v74, v66, v47 dst_sel:DWORD dst_unused:UNUSED_PAD src0_sel:WORD_0 src1_sel:DWORD
	v_mul_u32_u24_sdwa v66, v66, v47 dst_sel:DWORD dst_unused:UNUSED_PAD src0_sel:WORD_1 src1_sel:DWORD
	v_mul_u32_u24_sdwa v76, v67, v47 dst_sel:DWORD dst_unused:UNUSED_PAD src0_sel:WORD_0 src1_sel:DWORD
	v_mul_u32_u24_sdwa v67, v67, v47 dst_sel:DWORD dst_unused:UNUSED_PAD src0_sel:WORD_1 src1_sel:DWORD
	v_pk_fma_f16 v89, v58, v65, v54
	ds_read_b128 v[54:57], v41 offset:992
	s_waitcnt lgkmcnt(2)
	v_pk_fma_f16 v97, v5, v74, v59
	v_pk_fma_f16 v98, v5, v66, v63
	v_pk_fma_f16 v75, v5, v76, v75
	v_pk_fma_f16 v69, v5, v67, v69
	v_pk_fma_f16 v77, v6, v74, v77
	v_pk_fma_f16 v71, v6, v66, v71
	v_pk_fma_f16 v72, v6, v76, v72
	v_pk_fma_f16 v81, v6, v67, v81
	v_pk_fma_f16 v84, v7, v74, v84
	v_pk_fma_f16 v79, v7, v66, v79
	v_pk_fma_f16 v85, v7, v76, v85
	v_pk_fma_f16 v87, v7, v67, v87
	v_pk_fma_f16 v88, v8, v74, v88
	v_pk_fma_f16 v70, v8, v66, v70
	v_pk_fma_f16 v80, v8, v76, v80
	v_pk_fma_f16 v90, v8, v67, v90
	ds_read2_b64 v[5:8], v49 offset1:32
	s_waitcnt lgkmcnt(2)
	v_pk_fma_f16 v91, v50, v74, v91
	v_pk_fma_f16 v92, v50, v66, v92
	v_pk_fma_f16 v93, v50, v76, v93
	v_pk_fma_f16 v50, v50, v67, v94
	v_pk_fma_f16 v94, v51, v74, v60
	v_pk_fma_f16 v78, v51, v66, v78
	v_pk_fma_f16 v82, v51, v76, v82
	v_pk_fma_f16 v51, v51, v67, v95
	v_pk_fma_f16 v95, v52, v74, v61
	v_pk_fma_f16 v83, v52, v66, v83
	v_pk_fma_f16 v74, v53, v74, v62
	v_pk_fma_f16 v66, v53, v66, v64
	ds_read2_b64 v[58:61], v49 offset0:64 offset1:96
	ds_read_b128 v[62:65], v41 offset:1008
	v_pk_fma_f16 v86, v52, v76, v86
	v_pk_fma_f16 v52, v52, v67, v96
	v_pk_fma_f16 v68, v53, v76, v68
	s_waitcnt lgkmcnt(3)
	v_mul_u32_u24_sdwa v76, v54, v47 dst_sel:DWORD dst_unused:UNUSED_PAD src0_sel:WORD_0 src1_sel:DWORD
	v_mul_u32_u24_sdwa v54, v54, v47 dst_sel:DWORD dst_unused:UNUSED_PAD src0_sel:WORD_1 src1_sel:DWORD
	v_mul_u32_u24_sdwa v96, v55, v47 dst_sel:DWORD dst_unused:UNUSED_PAD src0_sel:WORD_0 src1_sel:DWORD
	v_mul_u32_u24_sdwa v55, v55, v47 dst_sel:DWORD dst_unused:UNUSED_PAD src0_sel:WORD_1 src1_sel:DWORD
	v_pk_fma_f16 v53, v53, v67, v89
	s_waitcnt lgkmcnt(2)
	v_pk_fma_f16 v67, v5, v76, v97
	v_pk_fma_f16 v89, v5, v54, v98
	;; [unrolled: 1-line block ×16, first 2 shown]
	s_waitcnt lgkmcnt(1)
	v_pk_fma_f16 v91, v58, v76, v91
	v_pk_fma_f16 v92, v58, v54, v92
	ds_read2_b64 v[5:8], v49 offset0:128 offset1:160
	v_pk_fma_f16 v93, v58, v96, v93
	v_pk_fma_f16 v58, v58, v55, v50
	;; [unrolled: 1-line block ×10, first 2 shown]
	ds_read2_b64 v[49:52], v49 offset0:192 offset1:224
	v_pk_fma_f16 v74, v61, v76, v74
	v_pk_fma_f16 v54, v61, v54, v66
	;; [unrolled: 1-line block ×3, first 2 shown]
	v_mul_u32_u24_sdwa v68, v56, v47 dst_sel:DWORD dst_unused:UNUSED_PAD src0_sel:WORD_0 src1_sel:DWORD
	v_mul_u32_u24_sdwa v56, v56, v47 dst_sel:DWORD dst_unused:UNUSED_PAD src0_sel:WORD_1 src1_sel:DWORD
	v_mul_u32_u24_sdwa v76, v57, v47 dst_sel:DWORD dst_unused:UNUSED_PAD src0_sel:WORD_0 src1_sel:DWORD
	v_mul_u32_u24_sdwa v57, v57, v47 dst_sel:DWORD dst_unused:UNUSED_PAD src0_sel:WORD_1 src1_sel:DWORD
	v_pk_fma_f16 v61, v61, v55, v53
	s_waitcnt lgkmcnt(1)
	v_pk_fma_f16 v67, v5, v68, v67
	v_pk_fma_f16 v89, v5, v56, v89
	;; [unrolled: 1-line block ×16, first 2 shown]
	s_waitcnt lgkmcnt(0)
	v_pk_fma_f16 v91, v49, v68, v91
	v_pk_fma_f16 v92, v49, v56, v92
	ds_read2_b64 v[5:8], v48 offset1:32
	v_pk_fma_f16 v93, v49, v76, v93
	v_pk_fma_f16 v49, v49, v57, v58
	;; [unrolled: 1-line block ×12, first 2 shown]
	ds_read2_b64 v[53:56], v48 offset0:64 offset1:96
	v_pk_fma_f16 v66, v52, v76, v66
	v_mul_u32_u24_sdwa v74, v62, v47 dst_sel:DWORD dst_unused:UNUSED_PAD src0_sel:WORD_0 src1_sel:DWORD
	v_mul_u32_u24_sdwa v62, v62, v47 dst_sel:DWORD dst_unused:UNUSED_PAD src0_sel:WORD_1 src1_sel:DWORD
	v_mul_u32_u24_sdwa v76, v63, v47 dst_sel:DWORD dst_unused:UNUSED_PAD src0_sel:WORD_0 src1_sel:DWORD
	v_mul_u32_u24_sdwa v63, v63, v47 dst_sel:DWORD dst_unused:UNUSED_PAD src0_sel:WORD_1 src1_sel:DWORD
	v_pk_fma_f16 v52, v52, v57, v61
	s_waitcnt lgkmcnt(1)
	v_pk_fma_f16 v57, v5, v74, v67
	v_pk_fma_f16 v61, v5, v62, v89
	v_pk_fma_f16 v67, v5, v76, v75
	v_pk_fma_f16 v69, v5, v63, v69
	v_pk_fma_f16 v75, v6, v74, v77
	v_pk_fma_f16 v71, v6, v62, v71
	v_pk_fma_f16 v77, v6, v76, v72
	v_pk_fma_f16 v89, v6, v63, v81
	v_pk_fma_f16 v94, v7, v74, v84
	v_pk_fma_f16 v95, v7, v62, v79
	v_pk_fma_f16 v85, v7, v76, v85
	v_pk_fma_f16 v87, v7, v63, v87
	v_pk_fma_f16 v88, v8, v74, v88
	v_pk_fma_f16 v70, v8, v62, v70
	v_pk_fma_f16 v96, v8, v76, v80
	v_pk_fma_f16 v90, v8, v63, v90
	ds_read2_b64 v[5:8], v48 offset0:128 offset1:160
	s_waitcnt lgkmcnt(1)
	v_pk_fma_f16 v98, v54, v76, v82
	v_pk_fma_f16 v101, v55, v62, v83
	ds_read2_b64 v[81:84], v48 offset0:192 offset1:224
	s_waitcnt lgkmcnt(0)
	s_barrier
	buffer_gl0_inv
	s_load_dword s0, s[6:7], 0x4
	v_pk_fma_f16 v91, v53, v74, v91
	v_pk_fma_f16 v92, v53, v62, v92
	;; [unrolled: 1-line block ×14, first 2 shown]
	v_mul_u32_u24_sdwa v66, v64, v47 dst_sel:DWORD dst_unused:UNUSED_PAD src0_sel:WORD_0 src1_sel:DWORD
	v_mul_u32_u24_sdwa v107, v64, v47 dst_sel:DWORD dst_unused:UNUSED_PAD src0_sel:WORD_1 src1_sel:DWORD
	v_mul_u32_u24_sdwa v108, v65, v47 dst_sel:DWORD dst_unused:UNUSED_PAD src0_sel:WORD_0 src1_sel:DWORD
	v_mul_u32_u24_sdwa v109, v65, v47 dst_sel:DWORD dst_unused:UNUSED_PAD src0_sel:WORD_1 src1_sel:DWORD
	s_waitcnt lgkmcnt(0)
	s_lshl_b32 s0, s0, 7
	v_pk_fma_f16 v72, v5, v66, v57
	v_pk_fma_f16 v64, v5, v107, v61
	;; [unrolled: 1-line block ×32, first 2 shown]
	s_add_i32 s8, s0, s8
	s_cmp_ge_i32 s8, s30
	s_cbranch_scc1 .LBB0_23
; %bb.22:                               ;   in Loop: Header=BB0_17 Depth=1
	v_mov_b32_e32 v88, v1
	v_mov_b32_e32 v91, v2
	;; [unrolled: 1-line block ×8, first 2 shown]
	s_branch .LBB0_17
.LBB0_23:
	v_mov_b32_e32 v6, 32
	v_mov_b32_e32 v7, v35
.LBB0_24:
	v_cmp_lt_i32_e32 vcc_lo, v9, v6
	s_cmp_lg_u64 s[16:17], 0
	s_cselect_b32 s0, -1, 0
	s_cmp_eq_u32 s28, 0
	v_cndmask_b32_e32 v5, v7, v9, vcc_lo
	v_cmp_lt_i32_e32 vcc_lo, v10, v6
	s_cselect_b32 s1, -1, 0
	s_and_b32 s0, s1, s0
	v_lshlrev_b32_e32 v5, 2, v5
	v_cndmask_b32_e32 v10, v7, v10, vcc_lo
	v_cmp_lt_i32_e32 vcc_lo, v11, v6
	ds_bpermute_b32 v8, v5, v14
	ds_bpermute_b32 v9, v5, v15
	ds_bpermute_b32 v18, v5, v73
	ds_bpermute_b32 v5, v5, v16
	v_lshlrev_b32_e32 v10, 2, v10
	v_cndmask_b32_e32 v11, v7, v11, vcc_lo
	v_cmp_lt_i32_e32 vcc_lo, v12, v6
	v_lshlrev_b32_e32 v11, 2, v11
	v_cndmask_b32_e32 v12, v7, v12, vcc_lo
	v_cmp_lt_i32_e32 vcc_lo, v13, v6
	v_lshlrev_b32_e32 v12, 2, v12
	v_cndmask_b32_e32 v6, v7, v13, vcc_lo
	s_and_b32 vcc_lo, exec_lo, s0
	s_waitcnt lgkmcnt(3)
	v_add_f32_e32 v8, v14, v8
	s_waitcnt lgkmcnt(2)
	v_add_f32_e32 v9, v15, v9
	;; [unrolled: 2-line block ×4, first 2 shown]
	v_lshlrev_b32_e32 v6, 2, v6
	ds_bpermute_b32 v15, v10, v8
	ds_bpermute_b32 v16, v10, v9
	ds_bpermute_b32 v18, v10, v14
	ds_bpermute_b32 v10, v10, v5
	s_waitcnt lgkmcnt(3)
	v_add_f32_e32 v8, v8, v15
	s_waitcnt lgkmcnt(2)
	v_add_f32_e32 v9, v9, v16
	s_waitcnt lgkmcnt(1)
	v_add_f32_e32 v14, v14, v18
	s_waitcnt lgkmcnt(0)
	v_add_f32_e32 v5, v5, v10
	ds_bpermute_b32 v10, v11, v8
	ds_bpermute_b32 v15, v11, v9
	ds_bpermute_b32 v16, v11, v14
	ds_bpermute_b32 v11, v11, v5
	s_waitcnt lgkmcnt(3)
	v_add_f32_e32 v8, v8, v10
	s_waitcnt lgkmcnt(2)
	v_add_f32_e32 v9, v9, v15
	s_waitcnt lgkmcnt(1)
	v_add_f32_e32 v10, v14, v16
	s_waitcnt lgkmcnt(0)
	v_add_f32_e32 v5, v5, v11
	ds_bpermute_b32 v11, v12, v8
	ds_bpermute_b32 v14, v12, v9
	ds_bpermute_b32 v15, v12, v10
	ds_bpermute_b32 v12, v12, v5
	s_waitcnt lgkmcnt(3)
	v_add_f32_e32 v7, v8, v11
	s_waitcnt lgkmcnt(2)
	v_add_f32_e32 v8, v9, v14
	s_waitcnt lgkmcnt(1)
	v_add_f32_e32 v9, v10, v15
	s_waitcnt lgkmcnt(0)
	v_add_f32_e32 v10, v5, v12
	ds_bpermute_b32 v5, v6, v7
	ds_bpermute_b32 v11, v6, v8
	ds_bpermute_b32 v12, v6, v9
	ds_bpermute_b32 v13, v6, v10
	s_waitcnt lgkmcnt(3)
	v_add_f32_e32 v5, v7, v5
	s_waitcnt lgkmcnt(2)
	v_add_f32_e32 v6, v8, v11
	s_waitcnt lgkmcnt(1)
	v_add_f32_e32 v7, v9, v12
	s_waitcnt lgkmcnt(0)
	v_add_f32_e32 v8, v10, v13
	s_cbranch_vccz .LBB0_27
; %bb.25:
	v_add_nc_u32_e32 v9, s29, v31
	v_max_f32_e32 v13, v1, v1
	v_max_f32_e32 v14, v2, v2
	;; [unrolled: 1-line block ×4, first 2 shown]
	v_ashrrev_i32_e32 v10, 31, v9
	v_mov_b32_e32 v22, 0x10001
	v_lshlrev_b64 v[9:10], 2, v[9:10]
	v_add_co_u32 v9, vcc_lo, s16, v9
	v_add_co_ci_u32_e64 v10, null, s17, v10, vcc_lo
	global_load_dwordx4 v[9:12], v[9:10], off
	s_waitcnt vmcnt(0)
	v_max_f32_e32 v16, v9, v9
	v_max_f32_e32 v19, v10, v10
	;; [unrolled: 1-line block ×8, first 2 shown]
	v_sub_f32_e32 v18, v1, v13
	v_sub_f32_e32 v19, v2, v14
	;; [unrolled: 1-line block ×4, first 2 shown]
	v_mov_b32_e32 v1, v13
	v_sub_f32_e32 v9, v9, v13
	v_mov_b32_e32 v2, v14
	v_mov_b32_e32 v3, v15
	v_mov_b32_e32 v4, v16
	v_mul_f32_e32 v13, 0x3fb8aa3b, v18
	v_sub_f32_e32 v10, v10, v14
	v_mul_f32_e32 v14, 0x3fb8aa3b, v9
	v_sub_f32_e32 v11, v11, v15
	v_mul_f32_e32 v15, 0x3fb8aa3b, v19
	v_fma_f32 v27, 0x3fb8aa3b, v18, -v13
	v_rndne_f32_e32 v28, v13
	v_fma_f32 v29, 0x3fb8aa3b, v9, -v14
	v_rndne_f32_e32 v30, v14
	v_sub_f32_e32 v12, v12, v16
	v_fmac_f32_e32 v27, 0x32a5705f, v18
	v_sub_f32_e32 v13, v13, v28
	v_mul_f32_e32 v16, 0x3fb8aa3b, v10
	v_fma_f32 v33, 0x3fb8aa3b, v19, -v15
	v_rndne_f32_e32 v34, v15
	v_fmac_f32_e32 v29, 0x32a5705f, v9
	v_sub_f32_e32 v14, v14, v30
	v_add_f32_e32 v13, v13, v27
	v_mul_f32_e32 v23, 0x3fb8aa3b, v20
	v_fma_f32 v35, 0x3fb8aa3b, v10, -v16
	v_rndne_f32_e32 v36, v16
	v_fmac_f32_e32 v33, 0x32a5705f, v19
	v_sub_f32_e32 v15, v15, v34
	v_add_f32_e32 v14, v14, v29
	v_exp_f32_e32 v13, v13
	v_mul_f32_e32 v24, 0x3fb8aa3b, v11
	v_fma_f32 v37, 0x3fb8aa3b, v20, -v23
	v_rndne_f32_e32 v38, v23
	v_cvt_i32_f32_e32 v28, v28
	v_fmac_f32_e32 v35, 0x32a5705f, v10
	v_sub_f32_e32 v16, v16, v36
	v_add_f32_e32 v15, v15, v33
	v_exp_f32_e32 v14, v14
	v_mul_f32_e32 v25, 0x3fb8aa3b, v21
	v_fma_f32 v39, 0x3fb8aa3b, v11, -v24
	v_rndne_f32_e32 v40, v24
	v_cvt_i32_f32_e32 v30, v30
	v_fmac_f32_e32 v37, 0x32a5705f, v20
	v_sub_f32_e32 v23, v23, v38
	v_add_f32_e32 v16, v16, v35
	v_exp_f32_e32 v15, v15
	v_ldexp_f32 v13, v13, v28
	v_cmp_ngt_f32_e32 vcc_lo, 0xc2ce8ed0, v18
	v_mul_f32_e32 v26, 0x3fb8aa3b, v12
	v_fma_f32 v41, 0x3fb8aa3b, v21, -v25
	v_rndne_f32_e32 v42, v25
	v_cvt_i32_f32_e32 v34, v34
	v_fmac_f32_e32 v39, 0x32a5705f, v11
	v_sub_f32_e32 v24, v24, v40
	v_add_f32_e32 v23, v23, v37
	v_exp_f32_e32 v16, v16
	v_ldexp_f32 v14, v14, v30
	v_cndmask_b32_e32 v13, 0, v13, vcc_lo
	v_cmp_ngt_f32_e32 vcc_lo, 0xc2ce8ed0, v9
	v_fma_f32 v43, 0x3fb8aa3b, v12, -v26
	v_rndne_f32_e32 v44, v26
	v_cvt_i32_f32_e32 v36, v36
	v_fmac_f32_e32 v41, 0x32a5705f, v21
	v_sub_f32_e32 v25, v25, v42
	v_add_f32_e32 v24, v24, v39
	v_exp_f32_e32 v23, v23
	v_ldexp_f32 v15, v15, v34
	v_cndmask_b32_e32 v14, 0, v14, vcc_lo
	v_cmp_ngt_f32_e32 vcc_lo, 0xc2ce8ed0, v19
	v_cvt_i32_f32_e32 v38, v38
	v_fmac_f32_e32 v43, 0x32a5705f, v12
	v_sub_f32_e32 v26, v26, v44
	v_add_f32_e32 v25, v25, v41
	v_exp_f32_e32 v24, v24
	v_ldexp_f32 v16, v16, v36
	v_cndmask_b32_e32 v15, 0, v15, vcc_lo
	v_cmp_ngt_f32_e32 vcc_lo, 0xc2ce8ed0, v10
	v_cvt_i32_f32_e32 v40, v40
	v_add_f32_e32 v26, v26, v43
	v_exp_f32_e32 v25, v25
	v_ldexp_f32 v23, v23, v38
	v_cndmask_b32_e32 v16, 0, v16, vcc_lo
	v_cmp_ngt_f32_e32 vcc_lo, 0xc2ce8ed0, v20
	v_exp_f32_e32 v26, v26
	v_cvt_i32_f32_e32 v27, v42
	v_ldexp_f32 v24, v24, v40
	v_cvt_i32_f32_e32 v29, v44
	v_cndmask_b32_e32 v23, 0, v23, vcc_lo
	v_cmp_ngt_f32_e32 vcc_lo, 0xc2ce8ed0, v11
	v_ldexp_f32 v25, v25, v27
	v_cndmask_b32_e32 v24, 0, v24, vcc_lo
	v_cmp_ngt_f32_e32 vcc_lo, 0xc2ce8ed0, v21
	v_ldexp_f32 v26, v26, v29
	v_cndmask_b32_e32 v25, 0, v25, vcc_lo
	v_cmp_ngt_f32_e32 vcc_lo, 0xc2ce8ed0, v12
	v_cndmask_b32_e32 v26, 0, v26, vcc_lo
	v_cmp_nlt_f32_e32 vcc_lo, 0x42b17218, v18
	v_cndmask_b32_e32 v13, 0x7f800000, v13, vcc_lo
	v_cmp_nlt_f32_e32 vcc_lo, 0x42b17218, v9
	;; [unrolled: 2-line block ×3, first 2 shown]
	v_fmac_f32_e32 v9, v5, v13
	v_cndmask_b32_e32 v14, 0x7f800000, v15, vcc_lo
	v_cmp_nlt_f32_e32 vcc_lo, 0x42b17218, v10
	v_cvt_f16_f32_e32 v5, v13
	v_cndmask_b32_e32 v10, 0x7f800000, v16, vcc_lo
	v_cmp_nlt_f32_e32 vcc_lo, 0x42b17218, v20
	v_fmac_f32_e32 v10, v6, v14
	v_cndmask_b32_e32 v15, 0x7f800000, v23, vcc_lo
	v_cmp_nlt_f32_e32 vcc_lo, 0x42b17218, v11
	v_cvt_f16_f32_e32 v6, v14
	v_cndmask_b32_e32 v11, 0x7f800000, v24, vcc_lo
	v_cmp_nlt_f32_e32 vcc_lo, 0x42b17218, v21
	v_mul_u32_u24_sdwa v14, v6, v22 dst_sel:DWORD dst_unused:UNUSED_PAD src0_sel:WORD_0 src1_sel:DWORD
	v_mov_b32_e32 v6, v10
	v_fmac_f32_e32 v11, v7, v15
	v_cndmask_b32_e32 v16, 0x7f800000, v25, vcc_lo
	v_cmp_nlt_f32_e32 vcc_lo, 0x42b17218, v12
	v_cvt_f16_f32_e32 v7, v15
	v_pk_mul_f16 v64, v64, v14
	v_pk_mul_f16 v71, v71, v14
	v_cvt_f16_f32_e32 v13, v16
	v_cndmask_b32_e32 v12, 0x7f800000, v26, vcc_lo
	v_mul_u32_u24_sdwa v15, v7, v22 dst_sel:DWORD dst_unused:UNUSED_PAD src0_sel:WORD_0 src1_sel:DWORD
	v_mov_b32_e32 v7, v11
	v_pk_mul_f16 v67, v67, v14
	v_mul_u32_u24_sdwa v13, v13, v22 dst_sel:DWORD dst_unused:UNUSED_PAD src0_sel:WORD_0 src1_sel:DWORD
	v_fmac_f32_e32 v12, v8, v16
	v_mul_u32_u24_sdwa v8, v5, v22 dst_sel:DWORD dst_unused:UNUSED_PAD src0_sel:WORD_0 src1_sel:DWORD
	v_mov_b32_e32 v5, v9
	v_pk_mul_f16 v70, v70, v14
	v_pk_mul_f16 v68, v68, v14
	;; [unrolled: 1-line block ×29, first 2 shown]
	v_mov_b32_e32 v8, v12
	s_mov_b32 s0, exec_lo
	v_cmpx_gt_i32_e64 s2, v17
	s_cbranch_execnz .LBB0_28
.LBB0_26:
	s_endpgm
.LBB0_27:
	v_mov_b32_e32 v12, v8
	v_mov_b32_e32 v11, v7
	;; [unrolled: 1-line block ×4, first 2 shown]
	s_mov_b32 s0, exec_lo
	v_cmpx_gt_i32_e64 s2, v17
	s_cbranch_execz .LBB0_26
.LBB0_28:
	s_load_dword s1, s[4:5], 0xd4
	v_mov_b32_e32 v15, 1.0
	s_waitcnt lgkmcnt(0)
	s_cmp_lg_u32 s1, 1
	s_cselect_b32 s5, -1, 0
	s_cmp_eq_u32 s1, 1
	s_cselect_b32 s4, -1, 0
	s_and_b32 vcc_lo, exec_lo, s5
	s_cbranch_vccnz .LBB0_30
; %bb.29:
	v_div_scale_f32 v13, null, v5, v5, 1.0
	v_rcp_f32_e32 v14, v13
	v_fma_f32 v15, -v13, v14, 1.0
	v_fmac_f32_e32 v14, v15, v14
	v_div_scale_f32 v15, vcc_lo, 1.0, v5, 1.0
	v_mul_f32_e32 v16, v15, v14
	v_fma_f32 v18, -v13, v16, v15
	v_fmac_f32_e32 v16, v18, v14
	v_fma_f32 v13, -v13, v16, v15
	v_div_fmas_f32 v13, v13, v14, v16
	v_div_fixup_f32 v15, v13, v5, 1.0
.LBB0_30:
	v_mad_u64_u32 v[13:14], null, s33, s2, v[17:18]
	v_cvt_f32_f16_sdwa v16, v72 dst_sel:DWORD dst_unused:UNUSED_PAD src0_sel:WORD_1
	v_cvt_f32_f16_e32 v20, v72
	v_mov_b32_e32 v29, 0
	v_cvt_f32_f16_sdwa v21, v80 dst_sel:DWORD dst_unused:UNUSED_PAD src0_sel:WORD_1
	v_cvt_f32_f16_sdwa v24, v76 dst_sel:DWORD dst_unused:UNUSED_PAD src0_sel:WORD_1
	v_cvt_f32_f16_e32 v25, v76
	v_mul_lo_u32 v13, v13, s3
	v_mul_f32_e32 v17, v15, v16
	v_mul_f32_e32 v16, v15, v20
	;; [unrolled: 1-line block ×5, first 2 shown]
	v_mov_b32_e32 v25, v29
	v_cvt_f32_f16_sdwa v26, v78 dst_sel:DWORD dst_unused:UNUSED_PAD src0_sel:WORD_1
	v_add3_u32 v13, s29, v31, v13
	v_mov_b32_e32 v31, v29
	v_cvt_f32_f16_e32 v35, v78
	v_cmp_eq_u32_e32 vcc_lo, 0, v0
	v_cvt_f32_f16_sdwa v0, v79 dst_sel:DWORD dst_unused:UNUSED_PAD src0_sel:WORD_1
	v_mad_u64_u32 v[13:14], null, s1, v13, s[28:29]
	v_cvt_f32_f16_e32 v14, v77
	v_cvt_f32_f16_e32 v5, v79
	v_cvt_f32_f16_sdwa v37, v77 dst_sel:DWORD dst_unused:UNUSED_PAD src0_sel:WORD_1
	v_cvt_f32_f16_e32 v22, v80
	v_mul_f32_e32 v27, v15, v26
	v_mul_f32_e32 v26, v15, v35
	v_lshl_add_u32 v28, v13, 9, v32
	v_mul_f32_e32 v19, v15, v0
	v_mul_f32_e32 v18, v15, v5
	v_cvt_f32_f16_sdwa v0, v75 dst_sel:DWORD dst_unused:UNUSED_PAD src0_sel:WORD_1
	v_cvt_f32_f16_e32 v5, v75
	v_add_nc_u32_e32 v24, 0x80, v28
	v_add_nc_u32_e32 v30, 0x100, v28
	v_lshlrev_b64 v[33:34], 2, v[28:29]
	v_add_nc_u32_e32 v28, 0x180, v28
	v_cvt_f32_f16_e32 v41, v74
	v_lshlrev_b64 v[24:25], 2, v[24:25]
	v_lshlrev_b64 v[30:31], 2, v[30:31]
	v_mul_f32_e32 v22, v15, v22
	v_add_co_u32 v33, s0, s20, v33
	v_lshlrev_b64 v[39:40], 2, v[28:29]
	v_add_co_ci_u32_e64 v34, null, s21, v34, s0
	v_add_co_u32 v35, s0, s20, v24
	v_mul_f32_e32 v24, v15, v14
	v_cvt_f32_f16_sdwa v14, v74 dst_sel:DWORD dst_unused:UNUSED_PAD src0_sel:WORD_1
	v_add_co_ci_u32_e64 v36, null, s21, v25, s0
	v_mul_f32_e32 v25, v15, v37
	v_add_co_u32 v37, s0, s20, v30
	v_add_co_ci_u32_e64 v38, null, s21, v31, s0
	v_mul_f32_e32 v29, v15, v14
	v_add_co_u32 v14, s0, s20, v39
	v_mul_f32_e32 v31, v15, v0
	v_mul_f32_e32 v30, v15, v5
	;; [unrolled: 1-line block ×3, first 2 shown]
	v_add_co_ci_u32_e64 v15, null, s21, v40, s0
	s_and_b32 s0, vcc_lo, s5
	global_store_dwordx4 v[33:34], v[16:19], off
	global_store_dwordx4 v[35:36], v[20:23], off
	;; [unrolled: 1-line block ×4, first 2 shown]
	s_and_saveexec_b32 s2, s0
	s_cbranch_execz .LBB0_32
; %bb.31:
	v_ashrrev_i32_e32 v14, 31, v13
	v_mov_b32_e32 v0, v1
	v_mov_b32_e32 v1, v9
	v_lshlrev_b64 v[14:15], 3, v[13:14]
	v_add_co_u32 v14, vcc_lo, s22, v14
	v_add_co_ci_u32_e64 v15, null, s23, v15, vcc_lo
	global_store_dwordx2 v[14:15], v[0:1], off
.LBB0_32:
	s_or_b32 exec_lo, exec_lo, s2
	v_cndmask_b32_e64 v5, 0, 1, s4
	v_mov_b32_e32 v1, 1.0
	s_andn2_b32 vcc_lo, exec_lo, s4
	s_cbranch_vccnz .LBB0_34
; %bb.33:
	v_div_scale_f32 v0, null, v6, v6, 1.0
	v_rcp_f32_e32 v1, v0
	v_fma_f32 v9, -v0, v1, 1.0
	v_fmac_f32_e32 v1, v9, v1
	v_div_scale_f32 v9, vcc_lo, 1.0, v6, 1.0
	v_mul_f32_e32 v14, v9, v1
	v_fma_f32 v15, -v0, v14, v9
	v_fmac_f32_e32 v14, v15, v1
	v_fma_f32 v0, -v0, v14, v9
	v_div_fmas_f32 v0, v0, v1, v14
	v_div_fixup_f32 v1, v0, v6, 1.0
.LBB0_34:
	v_add_nc_u32_e32 v0, s1, v13
	v_mov_b32_e32 v26, 0
	v_cvt_f32_f16_sdwa v13, v64 dst_sel:DWORD dst_unused:UNUSED_PAD src0_sel:WORD_1
	v_cvt_f32_f16_e32 v19, v64
	v_cvt_f32_f16_sdwa v6, v71 dst_sel:DWORD dst_unused:UNUSED_PAD src0_sel:WORD_1
	v_lshl_add_u32 v25, v0, 9, v32
	v_mov_b32_e32 v20, v26
	v_mul_f32_e32 v14, v1, v13
	v_mul_f32_e32 v13, v1, v19
	v_cvt_f32_f16_e32 v9, v71
	v_add_nc_u32_e32 v19, 0x80, v25
	v_lshlrev_b64 v[17:18], 2, v[25:26]
	v_mul_f32_e32 v16, v1, v6
	v_cvt_f32_f16_sdwa v6, v70 dst_sel:DWORD dst_unused:UNUSED_PAD src0_sel:WORD_1
	v_mul_f32_e32 v15, v1, v9
	v_lshlrev_b64 v[21:22], 2, v[19:20]
	v_cvt_f32_f16_e32 v9, v70
	v_add_co_u32 v29, vcc_lo, s20, v17
	v_add_co_ci_u32_e64 v30, null, s21, v18, vcc_lo
	v_add_co_u32 v33, vcc_lo, s20, v21
	v_add_co_ci_u32_e64 v34, null, s21, v22, vcc_lo
	v_add_nc_u32_e32 v21, 0x100, v25
	v_mov_b32_e32 v22, v26
	v_add_nc_u32_e32 v25, 0x180, v25
	v_cvt_f32_f16_sdwa v17, v67 dst_sel:DWORD dst_unused:UNUSED_PAD src0_sel:WORD_1
	v_cvt_f32_f16_e32 v23, v67
	v_mul_f32_e32 v20, v1, v6
	v_mul_f32_e32 v19, v1, v9
	v_cvt_f32_f16_sdwa v6, v69 dst_sel:DWORD dst_unused:UNUSED_PAD src0_sel:WORD_1
	v_cvt_f32_f16_e32 v9, v69
	v_cvt_f32_f16_sdwa v31, v68 dst_sel:DWORD dst_unused:UNUSED_PAD src0_sel:WORD_1
	v_lshlrev_b64 v[27:28], 2, v[21:22]
	v_cvt_f32_f16_e32 v35, v68
	v_lshlrev_b64 v[37:38], 2, v[25:26]
	v_mul_f32_e32 v18, v1, v17
	v_mul_f32_e32 v17, v1, v23
	;; [unrolled: 1-line block ×5, first 2 shown]
	v_cvt_f32_f16_sdwa v6, v66 dst_sel:DWORD dst_unused:UNUSED_PAD src0_sel:WORD_1
	v_cvt_f32_f16_e32 v9, v66
	v_cvt_f32_f16_sdwa v31, v65 dst_sel:DWORD dst_unused:UNUSED_PAD src0_sel:WORD_1
	v_cvt_f32_f16_e32 v39, v65
	v_mul_f32_e32 v21, v1, v35
	v_add_co_u32 v35, vcc_lo, s20, v27
	v_add_co_ci_u32_e64 v36, null, s21, v28, vcc_lo
	v_add_co_u32 v37, vcc_lo, s20, v37
	v_mul_f32_e32 v28, v1, v6
	v_mul_f32_e32 v27, v1, v9
	;; [unrolled: 1-line block ×4, first 2 shown]
	v_add_co_ci_u32_e64 v38, null, s21, v38, vcc_lo
	global_store_dwordx4 v[29:30], v[13:16], off
	global_store_dwordx4 v[33:34], v[17:20], off
	;; [unrolled: 1-line block ×4, first 2 shown]
	s_and_saveexec_b32 s2, s0
	s_cbranch_execz .LBB0_36
; %bb.35:
	v_ashrrev_i32_e32 v1, 31, v0
	v_mov_b32_e32 v9, v2
	v_lshlrev_b64 v[13:14], 3, v[0:1]
	v_add_co_u32 v13, vcc_lo, s22, v13
	v_add_co_ci_u32_e64 v14, null, s23, v14, vcc_lo
	global_store_dwordx2 v[13:14], v[9:10], off
.LBB0_36:
	s_or_b32 exec_lo, exec_lo, s2
	v_cmp_ne_u32_e32 vcc_lo, 1, v5
	v_mov_b32_e32 v1, 1.0
	s_cbranch_vccnz .LBB0_38
; %bb.37:
	v_div_scale_f32 v1, null, v7, v7, 1.0
	v_rcp_f32_e32 v2, v1
	v_fma_f32 v6, -v1, v2, 1.0
	v_fmac_f32_e32 v2, v6, v2
	v_div_scale_f32 v6, vcc_lo, 1.0, v7, 1.0
	v_mul_f32_e32 v9, v6, v2
	v_fma_f32 v10, -v1, v9, v6
	v_fmac_f32_e32 v9, v10, v2
	v_fma_f32 v1, -v1, v9, v6
	v_div_fmas_f32 v1, v1, v2, v9
	v_div_fixup_f32 v1, v1, v7, 1.0
.LBB0_38:
	v_add_nc_u32_e32 v0, s1, v0
	v_mov_b32_e32 v7, 0
	v_cvt_f32_f16_e32 v13, v63
	v_cvt_f32_f16_e32 v17, v56
	v_cvt_f32_f16_sdwa v2, v63 dst_sel:DWORD dst_unused:UNUSED_PAD src0_sel:WORD_1
	v_lshl_add_u32 v6, v0, 9, v32
	v_mov_b32_e32 v18, v7
	v_mul_f32_e32 v15, v1, v13
	v_mul_f32_e32 v13, v1, v17
	;; [unrolled: 1-line block ×3, first 2 shown]
	v_add_nc_u32_e32 v17, 0x80, v6
	v_lshlrev_b64 v[9:10], 2, v[6:7]
	v_cvt_f32_f16_sdwa v2, v62 dst_sel:DWORD dst_unused:UNUSED_PAD src0_sel:WORD_1
	v_cvt_f32_f16_sdwa v23, v59 dst_sel:DWORD dst_unused:UNUSED_PAD src0_sel:WORD_1
	v_cvt_f32_f16_e32 v24, v59
	v_lshlrev_b64 v[21:22], 2, v[17:18]
	v_cvt_f32_f16_sdwa v14, v56 dst_sel:DWORD dst_unused:UNUSED_PAD src0_sel:WORD_1
	v_add_co_u32 v9, vcc_lo, s20, v9
	v_add_co_ci_u32_e64 v10, null, s21, v10, vcc_lo
	v_add_co_u32 v29, vcc_lo, s20, v21
	v_add_co_ci_u32_e64 v30, null, s21, v22, vcc_lo
	v_add_nc_u32_e32 v21, 0x100, v6
	v_mov_b32_e32 v22, v7
	v_add_nc_u32_e32 v6, 0x180, v6
	v_mul_f32_e32 v20, v1, v2
	v_cvt_f32_f16_sdwa v2, v61 dst_sel:DWORD dst_unused:UNUSED_PAD src0_sel:WORD_1
	v_cvt_f32_f16_e32 v19, v62
	v_lshlrev_b64 v[25:26], 2, v[21:22]
	v_lshlrev_b64 v[6:7], 2, v[6:7]
	v_mul_f32_e32 v18, v1, v23
	v_mul_f32_e32 v17, v1, v24
	v_cvt_f32_f16_e32 v23, v61
	v_cvt_f32_f16_sdwa v27, v60 dst_sel:DWORD dst_unused:UNUSED_PAD src0_sel:WORD_1
	v_add_co_u32 v33, vcc_lo, s20, v25
	v_cvt_f32_f16_e32 v28, v60
	v_mul_f32_e32 v24, v1, v2
	v_add_co_ci_u32_e64 v34, null, s21, v26, vcc_lo
	v_cvt_f32_f16_sdwa v2, v58 dst_sel:DWORD dst_unused:UNUSED_PAD src0_sel:WORD_1
	v_cvt_f32_f16_e32 v25, v58
	v_cvt_f32_f16_sdwa v26, v57 dst_sel:DWORD dst_unused:UNUSED_PAD src0_sel:WORD_1
	v_cvt_f32_f16_e32 v31, v57
	v_mul_f32_e32 v14, v1, v14
	v_mul_f32_e32 v19, v1, v19
	;; [unrolled: 1-line block ×9, first 2 shown]
	v_add_co_u32 v1, vcc_lo, s20, v6
	v_add_co_ci_u32_e64 v2, null, s21, v7, vcc_lo
	global_store_dwordx4 v[9:10], v[13:16], off
	global_store_dwordx4 v[29:30], v[17:20], off
	global_store_dwordx4 v[33:34], v[21:24], off
	global_store_dwordx4 v[1:2], v[25:28], off
	s_and_saveexec_b32 s2, s0
	s_cbranch_execz .LBB0_40
; %bb.39:
	v_ashrrev_i32_e32 v1, 31, v0
	v_mov_b32_e32 v10, v3
	v_lshlrev_b64 v[1:2], 3, v[0:1]
	v_add_co_u32 v1, vcc_lo, s22, v1
	v_add_co_ci_u32_e64 v2, null, s23, v2, vcc_lo
	global_store_dwordx2 v[1:2], v[10:11], off
.LBB0_40:
	s_or_b32 exec_lo, exec_lo, s2
	v_cmp_ne_u32_e32 vcc_lo, 1, v5
	v_mov_b32_e32 v1, 1.0
	s_cbranch_vccnz .LBB0_42
; %bb.41:
	v_div_scale_f32 v1, null, v8, v8, 1.0
	v_rcp_f32_e32 v2, v1
	v_fma_f32 v3, -v1, v2, 1.0
	v_fmac_f32_e32 v2, v3, v2
	v_div_scale_f32 v3, vcc_lo, 1.0, v8, 1.0
	v_mul_f32_e32 v5, v3, v2
	v_fma_f32 v6, -v1, v5, v3
	v_fmac_f32_e32 v5, v6, v2
	v_fma_f32 v1, -v1, v5, v3
	v_div_fmas_f32 v1, v1, v2, v5
	v_div_fixup_f32 v1, v1, v8, 1.0
.LBB0_42:
	v_add_nc_u32_e32 v0, s1, v0
	v_cvt_f32_f16_sdwa v5, v54 dst_sel:DWORD dst_unused:UNUSED_PAD src0_sel:WORD_1
	v_mov_b32_e32 v3, 0
	v_cvt_f32_f16_e32 v13, v55
	v_cvt_f32_f16_e32 v6, v54
	v_lshl_add_u32 v2, v0, 9, v32
	v_mul_f32_e32 v8, v1, v5
	v_mov_b32_e32 v14, v3
	v_mul_f32_e32 v5, v1, v13
	v_cvt_f32_f16_sdwa v11, v55 dst_sel:DWORD dst_unused:UNUSED_PAD src0_sel:WORD_1
	v_add_nc_u32_e32 v13, 0x80, v2
	v_lshlrev_b64 v[9:10], 2, v[2:3]
	v_mul_f32_e32 v7, v1, v6
	v_cvt_f32_f16_sdwa v19, v50 dst_sel:DWORD dst_unused:UNUSED_PAD src0_sel:WORD_1
	v_mul_f32_e32 v6, v1, v11
	v_lshlrev_b64 v[17:18], 2, v[13:14]
	v_cvt_f32_f16_sdwa v11, v53 dst_sel:DWORD dst_unused:UNUSED_PAD src0_sel:WORD_1
	v_add_co_u32 v9, vcc_lo, s20, v9
	v_add_co_ci_u32_e64 v10, null, s21, v10, vcc_lo
	v_add_co_u32 v25, vcc_lo, s20, v17
	v_add_co_ci_u32_e64 v26, null, s21, v18, vcc_lo
	v_add_nc_u32_e32 v17, 0x100, v2
	v_mov_b32_e32 v18, v3
	v_add_nc_u32_e32 v2, 0x180, v2
	v_cvt_f32_f16_e32 v20, v50
	v_mul_f32_e32 v16, v1, v11
	v_cvt_f32_f16_sdwa v11, v52 dst_sel:DWORD dst_unused:UNUSED_PAD src0_sel:WORD_1
	v_lshlrev_b64 v[21:22], 2, v[17:18]
	v_lshlrev_b64 v[2:3], 2, v[2:3]
	v_cvt_f32_f16_e32 v15, v53
	v_mul_f32_e32 v14, v1, v19
	v_mul_f32_e32 v13, v1, v20
	v_cvt_f32_f16_e32 v19, v52
	v_add_co_u32 v27, vcc_lo, s20, v21
	v_cvt_f32_f16_sdwa v23, v51 dst_sel:DWORD dst_unused:UNUSED_PAD src0_sel:WORD_1
	v_cvt_f32_f16_e32 v24, v51
	v_mul_f32_e32 v20, v1, v11
	v_add_co_ci_u32_e64 v28, null, s21, v22, vcc_lo
	v_cvt_f32_f16_sdwa v11, v48 dst_sel:DWORD dst_unused:UNUSED_PAD src0_sel:WORD_1
	v_cvt_f32_f16_e32 v21, v48
	v_cvt_f32_f16_sdwa v22, v49 dst_sel:DWORD dst_unused:UNUSED_PAD src0_sel:WORD_1
	v_cvt_f32_f16_e32 v29, v49
	v_mul_f32_e32 v15, v1, v15
	v_mul_f32_e32 v19, v1, v19
	;; [unrolled: 1-line block ×8, first 2 shown]
	v_add_co_u32 v1, vcc_lo, s20, v2
	v_add_co_ci_u32_e64 v2, null, s21, v3, vcc_lo
	global_store_dwordx4 v[9:10], v[5:8], off
	global_store_dwordx4 v[25:26], v[13:16], off
	;; [unrolled: 1-line block ×4, first 2 shown]
	s_and_b32 exec_lo, exec_lo, s0
	s_cbranch_execz .LBB0_26
; %bb.43:
	v_ashrrev_i32_e32 v1, 31, v0
	v_mov_b32_e32 v11, v4
	v_lshlrev_b64 v[0:1], 3, v[0:1]
	v_add_co_u32 v0, vcc_lo, s22, v0
	v_add_co_ci_u32_e64 v1, null, s23, v1, vcc_lo
	global_store_dwordx2 v[0:1], v[11:12], off
	s_endpgm
	.section	.rodata,"a",@progbits
	.p2align	6, 0x0
	.amdhsa_kernel _ZL15flash_attn_tileILi576ELi512ELi2ELi16ELb0EEvPKcS1_S1_S1_S1_PKiPfP15HIP_vector_typeIfLj2EEffffjfiS5_IjLj3EEiiiiiiiiiiiliiliiiiil
		.amdhsa_group_segment_fixed_size 63488
		.amdhsa_private_segment_fixed_size 0
		.amdhsa_kernarg_size 464
		.amdhsa_user_sgpr_count 6
		.amdhsa_user_sgpr_private_segment_buffer 1
		.amdhsa_user_sgpr_dispatch_ptr 0
		.amdhsa_user_sgpr_queue_ptr 0
		.amdhsa_user_sgpr_kernarg_segment_ptr 1
		.amdhsa_user_sgpr_dispatch_id 0
		.amdhsa_user_sgpr_flat_scratch_init 0
		.amdhsa_user_sgpr_private_segment_size 0
		.amdhsa_wavefront_size32 1
		.amdhsa_uses_dynamic_stack 0
		.amdhsa_system_sgpr_private_segment_wavefront_offset 0
		.amdhsa_system_sgpr_workgroup_id_x 1
		.amdhsa_system_sgpr_workgroup_id_y 1
		.amdhsa_system_sgpr_workgroup_id_z 1
		.amdhsa_system_sgpr_workgroup_info 0
		.amdhsa_system_vgpr_workitem_id 1
		.amdhsa_next_free_vgpr 202
		.amdhsa_next_free_sgpr 41
		.amdhsa_reserve_vcc 1
		.amdhsa_reserve_flat_scratch 0
		.amdhsa_float_round_mode_32 0
		.amdhsa_float_round_mode_16_64 0
		.amdhsa_float_denorm_mode_32 3
		.amdhsa_float_denorm_mode_16_64 3
		.amdhsa_dx10_clamp 1
		.amdhsa_ieee_mode 1
		.amdhsa_fp16_overflow 0
		.amdhsa_workgroup_processor_mode 1
		.amdhsa_memory_ordered 1
		.amdhsa_forward_progress 1
		.amdhsa_shared_vgpr_count 0
		.amdhsa_exception_fp_ieee_invalid_op 0
		.amdhsa_exception_fp_denorm_src 0
		.amdhsa_exception_fp_ieee_div_zero 0
		.amdhsa_exception_fp_ieee_overflow 0
		.amdhsa_exception_fp_ieee_underflow 0
		.amdhsa_exception_fp_ieee_inexact 0
		.amdhsa_exception_int_div_zero 0
	.end_amdhsa_kernel
	.section	.text._ZL15flash_attn_tileILi576ELi512ELi2ELi16ELb0EEvPKcS1_S1_S1_S1_PKiPfP15HIP_vector_typeIfLj2EEffffjfiS5_IjLj3EEiiiiiiiiiiiliiliiiiil,"axG",@progbits,_ZL15flash_attn_tileILi576ELi512ELi2ELi16ELb0EEvPKcS1_S1_S1_S1_PKiPfP15HIP_vector_typeIfLj2EEffffjfiS5_IjLj3EEiiiiiiiiiiiliiliiiiil,comdat
.Lfunc_end0:
	.size	_ZL15flash_attn_tileILi576ELi512ELi2ELi16ELb0EEvPKcS1_S1_S1_S1_PKiPfP15HIP_vector_typeIfLj2EEffffjfiS5_IjLj3EEiiiiiiiiiiiliiliiiiil, .Lfunc_end0-_ZL15flash_attn_tileILi576ELi512ELi2ELi16ELb0EEvPKcS1_S1_S1_S1_PKiPfP15HIP_vector_typeIfLj2EEffffjfiS5_IjLj3EEiiiiiiiiiiiliiliiiiil
                                        ; -- End function
	.set _ZL15flash_attn_tileILi576ELi512ELi2ELi16ELb0EEvPKcS1_S1_S1_S1_PKiPfP15HIP_vector_typeIfLj2EEffffjfiS5_IjLj3EEiiiiiiiiiiiliiliiiiil.num_vgpr, 202
	.set _ZL15flash_attn_tileILi576ELi512ELi2ELi16ELb0EEvPKcS1_S1_S1_S1_PKiPfP15HIP_vector_typeIfLj2EEffffjfiS5_IjLj3EEiiiiiiiiiiiliiliiiiil.num_agpr, 0
	.set _ZL15flash_attn_tileILi576ELi512ELi2ELi16ELb0EEvPKcS1_S1_S1_S1_PKiPfP15HIP_vector_typeIfLj2EEffffjfiS5_IjLj3EEiiiiiiiiiiiliiliiiiil.numbered_sgpr, 41
	.set _ZL15flash_attn_tileILi576ELi512ELi2ELi16ELb0EEvPKcS1_S1_S1_S1_PKiPfP15HIP_vector_typeIfLj2EEffffjfiS5_IjLj3EEiiiiiiiiiiiliiliiiiil.num_named_barrier, 0
	.set _ZL15flash_attn_tileILi576ELi512ELi2ELi16ELb0EEvPKcS1_S1_S1_S1_PKiPfP15HIP_vector_typeIfLj2EEffffjfiS5_IjLj3EEiiiiiiiiiiiliiliiiiil.private_seg_size, 0
	.set _ZL15flash_attn_tileILi576ELi512ELi2ELi16ELb0EEvPKcS1_S1_S1_S1_PKiPfP15HIP_vector_typeIfLj2EEffffjfiS5_IjLj3EEiiiiiiiiiiiliiliiiiil.uses_vcc, 1
	.set _ZL15flash_attn_tileILi576ELi512ELi2ELi16ELb0EEvPKcS1_S1_S1_S1_PKiPfP15HIP_vector_typeIfLj2EEffffjfiS5_IjLj3EEiiiiiiiiiiiliiliiiiil.uses_flat_scratch, 0
	.set _ZL15flash_attn_tileILi576ELi512ELi2ELi16ELb0EEvPKcS1_S1_S1_S1_PKiPfP15HIP_vector_typeIfLj2EEffffjfiS5_IjLj3EEiiiiiiiiiiiliiliiiiil.has_dyn_sized_stack, 0
	.set _ZL15flash_attn_tileILi576ELi512ELi2ELi16ELb0EEvPKcS1_S1_S1_S1_PKiPfP15HIP_vector_typeIfLj2EEffffjfiS5_IjLj3EEiiiiiiiiiiiliiliiiiil.has_recursion, 0
	.set _ZL15flash_attn_tileILi576ELi512ELi2ELi16ELb0EEvPKcS1_S1_S1_S1_PKiPfP15HIP_vector_typeIfLj2EEffffjfiS5_IjLj3EEiiiiiiiiiiiliiliiiiil.has_indirect_call, 0
	.section	.AMDGPU.csdata,"",@progbits
; Kernel info:
; codeLenInByte = 86212
; TotalNumSgprs: 43
; NumVgprs: 202
; ScratchSize: 0
; MemoryBound: 0
; FloatMode: 240
; IeeeMode: 1
; LDSByteSize: 63488 bytes/workgroup (compile time only)
; SGPRBlocks: 0
; VGPRBlocks: 25
; NumSGPRsForWavesPerEU: 43
; NumVGPRsForWavesPerEU: 202
; Occupancy: 4
; WaveLimiterHint : 1
; COMPUTE_PGM_RSRC2:SCRATCH_EN: 0
; COMPUTE_PGM_RSRC2:USER_SGPR: 6
; COMPUTE_PGM_RSRC2:TRAP_HANDLER: 0
; COMPUTE_PGM_RSRC2:TGID_X_EN: 1
; COMPUTE_PGM_RSRC2:TGID_Y_EN: 1
; COMPUTE_PGM_RSRC2:TGID_Z_EN: 1
; COMPUTE_PGM_RSRC2:TIDIG_COMP_CNT: 1
	.section	.text._ZL25flash_attn_mask_to_KV_maxILi2EEvPK7__half2Piiii,"axG",@progbits,_ZL25flash_attn_mask_to_KV_maxILi2EEvPK7__half2Piiii,comdat
	.globl	_ZL25flash_attn_mask_to_KV_maxILi2EEvPK7__half2Piiii ; -- Begin function _ZL25flash_attn_mask_to_KV_maxILi2EEvPK7__half2Piiii
	.p2align	8
	.type	_ZL25flash_attn_mask_to_KV_maxILi2EEvPK7__half2Piiii,@function
_ZL25flash_attn_mask_to_KV_maxILi2EEvPK7__half2Piiii: ; @_ZL25flash_attn_mask_to_KV_maxILi2EEvPK7__half2Piiii
; %bb.0:
	s_load_dwordx4 s[8:11], s[4:5], 0x0
	s_mov_b32 s0, exec_lo
	v_cmpx_gt_u32_e32 32, v0
; %bb.1:
	v_lshlrev_b32_e32 v1, 2, v0
	v_mov_b32_e32 v2, 1
	ds_write_b32 v1, v2
; %bb.2:
	s_or_b32 exec_lo, exec_lo, s0
	s_clause 0x1
	s_load_dwordx4 s[12:15], s[4:5], 0x10
	s_load_dword s1, s[4:5], 0x20
	v_and_b32_e32 v1, 31, v0
	v_lshrrev_b32_e32 v3, 3, v0
	v_mov_b32_e32 v2, 0
	v_mov_b32_e32 v4, 0x204
	s_waitcnt lgkmcnt(0)
	v_lshlrev_b32_e32 v5, 2, v1
	s_barrier
	buffer_gl0_inv
	s_mul_i32 s0, s6, s13
	s_mul_i32 s2, s14, s7
	s_lshl_b32 s0, s0, 1
	s_add_i32 s2, s2, s0
	v_cmp_eq_u32_e64 s0, 0, v1
	s_ashr_i32 s3, s2, 31
	s_lshl_b64 s[4:5], s[2:3], 2
	s_add_u32 s3, s8, s4
	s_addc_u32 s4, s9, s5
	s_lshl_b32 s5, s12, 8
	s_branch .LBB1_4
.LBB1_3:                                ;   in Loop: Header=BB1_4 Depth=1
	s_or_b32 exec_lo, exec_lo, s8
	s_waitcnt lgkmcnt(0)
	s_barrier
	buffer_gl0_inv
	ds_read_b32 v1, v5
	s_waitcnt lgkmcnt(0)
	s_barrier
	buffer_gl0_inv
	v_cmp_ne_u32_e32 vcc_lo, 0, v1
	s_cmp_lg_u32 vcc_lo, exec_lo
	s_cselect_b32 s8, -1, 0
	s_and_b32 vcc_lo, exec_lo, s8
	s_cbranch_vccnz .LBB1_12
.LBB1_4:                                ; =>This Inner Loop Header: Depth=1
	s_mov_b32 s2, s5
	s_addk_i32 s5, 0xff00
	s_cmp_lt_i32 s5, 0
	s_cbranch_scc1 .LBB1_11
; %bb.5:                                ;   in Loop: Header=BB1_4 Depth=1
	s_lshr_b32 s8, s5, 1
	v_add_nc_u32_e32 v1, s8, v0
	v_lshlrev_b64 v[6:7], 2, v[1:2]
	v_add_co_u32 v6, vcc_lo, s3, v6
	v_add_co_ci_u32_e64 v7, null, s4, v7, vcc_lo
	global_load_dword v6, v[6:7], off
	s_waitcnt vmcnt(0)
	v_cmp_class_f16_e64 s8, v6, 0x204
	v_cmp_class_f16_sdwa s9, v6, v4 src0_sel:WORD_1 src1_sel:DWORD
	s_and_b32 s12, s8, s9
	s_mov_b32 s9, 0
	s_and_saveexec_b32 s8, s12
	s_cbranch_execz .LBB1_9
; %bb.6:                                ;   in Loop: Header=BB1_4 Depth=1
	v_add_nc_u32_e32 v6, s13, v1
	v_ashrrev_i32_e32 v7, 31, v6
	v_lshlrev_b64 v[6:7], 2, v[6:7]
	v_add_co_u32 v6, vcc_lo, s3, v6
	v_add_co_ci_u32_e64 v7, null, s4, v7, vcc_lo
	global_load_dword v1, v[6:7], off
	s_waitcnt vmcnt(0)
	v_cmp_class_f16_e64 s14, v1, 0x204
	s_and_saveexec_b32 s12, s14
; %bb.7:                                ;   in Loop: Header=BB1_4 Depth=1
	v_cmp_class_f16_sdwa s9, v1, v4 src0_sel:WORD_1 src1_sel:DWORD
	s_and_b32 s9, s9, exec_lo
; %bb.8:                                ;   in Loop: Header=BB1_4 Depth=1
	s_or_b32 exec_lo, exec_lo, s12
	s_and_b32 s9, s9, exec_lo
.LBB1_9:                                ;   in Loop: Header=BB1_4 Depth=1
	s_or_b32 exec_lo, exec_lo, s8
	v_cndmask_b32_e64 v1, 0, 1, s9
	s_mov_b32 s12, exec_lo
	v_cmp_ne_u32_e32 vcc_lo, 0, v1
	s_and_saveexec_b32 s8, s0
	s_cbranch_execz .LBB1_3
; %bb.10:                               ;   in Loop: Header=BB1_4 Depth=1
	s_cmp_eq_u32 vcc_lo, s12
	s_cselect_b32 s9, -1, 0
	v_cndmask_b32_e64 v1, 0, 1, s9
	ds_write_b32 v3, v1
	s_branch .LBB1_3
.LBB1_11:                               ;   in Loop: Header=BB1_4 Depth=1
	s_cbranch_execz .LBB1_4
.LBB1_12:
	s_mov_b32 s0, exec_lo
	v_cmpx_eq_u32_e32 0, v0
	s_cbranch_execz .LBB1_14
; %bb.13:
	s_mul_i32 s0, s1, s7
	v_mov_b32_e32 v0, 0
	s_add_i32 s0, s0, s6
	v_mov_b32_e32 v1, s2
	s_ashr_i32 s1, s0, 31
	s_lshl_b64 s[0:1], s[0:1], 2
	s_add_u32 s0, s10, s0
	s_addc_u32 s1, s11, s1
	global_store_dword v0, v1, s[0:1]
.LBB1_14:
	s_endpgm
	.section	.rodata,"a",@progbits
	.p2align	6, 0x0
	.amdhsa_kernel _ZL25flash_attn_mask_to_KV_maxILi2EEvPK7__half2Piiii
		.amdhsa_group_segment_fixed_size 128
		.amdhsa_private_segment_fixed_size 0
		.amdhsa_kernarg_size 288
		.amdhsa_user_sgpr_count 6
		.amdhsa_user_sgpr_private_segment_buffer 1
		.amdhsa_user_sgpr_dispatch_ptr 0
		.amdhsa_user_sgpr_queue_ptr 0
		.amdhsa_user_sgpr_kernarg_segment_ptr 1
		.amdhsa_user_sgpr_dispatch_id 0
		.amdhsa_user_sgpr_flat_scratch_init 0
		.amdhsa_user_sgpr_private_segment_size 0
		.amdhsa_wavefront_size32 1
		.amdhsa_uses_dynamic_stack 0
		.amdhsa_system_sgpr_private_segment_wavefront_offset 0
		.amdhsa_system_sgpr_workgroup_id_x 1
		.amdhsa_system_sgpr_workgroup_id_y 1
		.amdhsa_system_sgpr_workgroup_id_z 0
		.amdhsa_system_sgpr_workgroup_info 0
		.amdhsa_system_vgpr_workitem_id 0
		.amdhsa_next_free_vgpr 8
		.amdhsa_next_free_sgpr 16
		.amdhsa_reserve_vcc 1
		.amdhsa_reserve_flat_scratch 0
		.amdhsa_float_round_mode_32 0
		.amdhsa_float_round_mode_16_64 0
		.amdhsa_float_denorm_mode_32 3
		.amdhsa_float_denorm_mode_16_64 3
		.amdhsa_dx10_clamp 1
		.amdhsa_ieee_mode 1
		.amdhsa_fp16_overflow 0
		.amdhsa_workgroup_processor_mode 1
		.amdhsa_memory_ordered 1
		.amdhsa_forward_progress 1
		.amdhsa_shared_vgpr_count 0
		.amdhsa_exception_fp_ieee_invalid_op 0
		.amdhsa_exception_fp_denorm_src 0
		.amdhsa_exception_fp_ieee_div_zero 0
		.amdhsa_exception_fp_ieee_overflow 0
		.amdhsa_exception_fp_ieee_underflow 0
		.amdhsa_exception_fp_ieee_inexact 0
		.amdhsa_exception_int_div_zero 0
	.end_amdhsa_kernel
	.section	.text._ZL25flash_attn_mask_to_KV_maxILi2EEvPK7__half2Piiii,"axG",@progbits,_ZL25flash_attn_mask_to_KV_maxILi2EEvPK7__half2Piiii,comdat
.Lfunc_end1:
	.size	_ZL25flash_attn_mask_to_KV_maxILi2EEvPK7__half2Piiii, .Lfunc_end1-_ZL25flash_attn_mask_to_KV_maxILi2EEvPK7__half2Piiii
                                        ; -- End function
	.set _ZL25flash_attn_mask_to_KV_maxILi2EEvPK7__half2Piiii.num_vgpr, 8
	.set _ZL25flash_attn_mask_to_KV_maxILi2EEvPK7__half2Piiii.num_agpr, 0
	.set _ZL25flash_attn_mask_to_KV_maxILi2EEvPK7__half2Piiii.numbered_sgpr, 16
	.set _ZL25flash_attn_mask_to_KV_maxILi2EEvPK7__half2Piiii.num_named_barrier, 0
	.set _ZL25flash_attn_mask_to_KV_maxILi2EEvPK7__half2Piiii.private_seg_size, 0
	.set _ZL25flash_attn_mask_to_KV_maxILi2EEvPK7__half2Piiii.uses_vcc, 1
	.set _ZL25flash_attn_mask_to_KV_maxILi2EEvPK7__half2Piiii.uses_flat_scratch, 0
	.set _ZL25flash_attn_mask_to_KV_maxILi2EEvPK7__half2Piiii.has_dyn_sized_stack, 0
	.set _ZL25flash_attn_mask_to_KV_maxILi2EEvPK7__half2Piiii.has_recursion, 0
	.set _ZL25flash_attn_mask_to_KV_maxILi2EEvPK7__half2Piiii.has_indirect_call, 0
	.section	.AMDGPU.csdata,"",@progbits
; Kernel info:
; codeLenInByte = 500
; TotalNumSgprs: 18
; NumVgprs: 8
; ScratchSize: 0
; MemoryBound: 0
; FloatMode: 240
; IeeeMode: 1
; LDSByteSize: 128 bytes/workgroup (compile time only)
; SGPRBlocks: 0
; VGPRBlocks: 0
; NumSGPRsForWavesPerEU: 18
; NumVGPRsForWavesPerEU: 8
; Occupancy: 16
; WaveLimiterHint : 0
; COMPUTE_PGM_RSRC2:SCRATCH_EN: 0
; COMPUTE_PGM_RSRC2:USER_SGPR: 6
; COMPUTE_PGM_RSRC2:TRAP_HANDLER: 0
; COMPUTE_PGM_RSRC2:TGID_X_EN: 1
; COMPUTE_PGM_RSRC2:TGID_Y_EN: 1
; COMPUTE_PGM_RSRC2:TGID_Z_EN: 0
; COMPUTE_PGM_RSRC2:TIDIG_COMP_CNT: 0
	.section	.text._ZL33flash_attn_stream_k_fixup_uniformILi512ELi2ELi16EEvPfPK15HIP_vector_typeIfLj2EEiiiiiiS1_IjLj3EES5_S5_,"axG",@progbits,_ZL33flash_attn_stream_k_fixup_uniformILi512ELi2ELi16EEvPfPK15HIP_vector_typeIfLj2EEiiiiiiS1_IjLj3EES5_S5_,comdat
	.globl	_ZL33flash_attn_stream_k_fixup_uniformILi512ELi2ELi16EEvPfPK15HIP_vector_typeIfLj2EEiiiiiiS1_IjLj3EES5_S5_ ; -- Begin function _ZL33flash_attn_stream_k_fixup_uniformILi512ELi2ELi16EEvPfPK15HIP_vector_typeIfLj2EEiiiiiiS1_IjLj3EES5_S5_
	.p2align	8
	.type	_ZL33flash_attn_stream_k_fixup_uniformILi512ELi2ELi16EEvPfPK15HIP_vector_typeIfLj2EEiiiiiiS1_IjLj3EES5_S5_,@function
_ZL33flash_attn_stream_k_fixup_uniformILi512ELi2ELi16EEvPfPK15HIP_vector_typeIfLj2EEiiiiiiS1_IjLj3EES5_S5_: ; @_ZL33flash_attn_stream_k_fixup_uniformILi512ELi2ELi16EEvPfPK15HIP_vector_typeIfLj2EEiiiiiiS1_IjLj3EES5_S5_
; %bb.0:
	s_clause 0x2
	s_load_dwordx8 s[12:19], s[4:5], 0x1c
	s_load_dwordx4 s[20:23], s[4:5], 0x3c
	s_load_dwordx2 s[10:11], s[4:5], 0x10
	s_waitcnt lgkmcnt(0)
	s_mul_hi_u32 s0, s15, s6
	s_add_i32 s0, s6, s0
	s_lshr_b32 s0, s0, s16
	s_mul_i32 s1, s0, s17
	s_sub_i32 s2, s6, s1
	s_mul_hi_u32 s1, s2, s18
	s_add_i32 s1, s2, s1
	s_lshr_b32 s1, s1, s19
	s_mul_i32 s3, s1, s20
	s_sub_i32 s2, s2, s3
	s_mul_hi_u32 s3, s2, s21
	s_add_i32 s3, s2, s3
	s_lshr_b32 s3, s3, s22
	s_mul_i32 s9, s3, s23
	s_lshl_b32 s15, s3, 4
	s_sub_i32 s9, s2, s9
	s_lshl_b32 s2, s9, 1
	s_add_i32 s2, s2, s7
	s_cmp_lt_i32 s2, s10
	s_cselect_b32 s2, -1, 0
	s_add_i32 s3, s15, s8
	s_cmp_lt_i32 s3, s13
	s_cselect_b32 s3, -1, 0
	s_and_b32 s2, s2, s3
	s_andn2_b32 vcc_lo, exec_lo, s2
	s_cbranch_vccnz .LBB2_6
; %bb.1:
	s_mul_i32 s0, s0, s10
	s_mul_i32 s10, s1, s13
	s_add_i32 s0, s0, s7
	s_mul_i32 s0, s0, s11
	s_add_i32 s13, s0, s8
	s_load_dwordx4 s[0:3], s[4:5], 0x0
	s_add_i32 s4, s13, s10
	s_mul_i32 s5, s11, s9
	s_add_i32 s4, s4, s15
	s_lshl_b32 s5, s5, 10
	s_lshl_b32 s4, s4, 9
	;; [unrolled: 1-line block ×3, first 2 shown]
	s_add_i32 s5, s5, s4
	s_mul_i32 s4, s14, s6
	v_or_b32_e32 v1, s5, v0
	s_add_i32 s11, s4, s14
	v_ashrrev_i32_e32 v2, 31, v1
	v_lshlrev_b64 v[1:2], 2, v[1:2]
	s_waitcnt lgkmcnt(0)
	v_add_co_u32 v1, vcc_lo, s0, v1
	v_add_co_ci_u32_e64 v2, null, s1, v2, vcc_lo
	s_add_i32 s0, s10, s8
	s_lshl_b32 s1, s11, 5
	s_add_i32 s0, s0, s1
	global_load_dword v5, v[1:2], off
	s_sub_i32 s0, s0, 32
	s_ashr_i32 s1, s0, 31
	s_lshl_b64 s[0:1], s[0:1], 3
	s_add_u32 s0, s2, s0
	s_addc_u32 s1, s3, s1
	s_add_i32 s5, s11, -2
	s_load_dword s13, s[0:1], 0x4
	s_cmp_lt_i32 s5, s4
	s_cbranch_scc1 .LBB2_4
; %bb.2:
	s_lshl_b32 s16, s12, 7
	s_load_dword s15, s[0:1], 0x0
	s_ashr_i32 s17, s16, 31
	s_waitcnt lgkmcnt(0)
	v_mov_b32_e32 v6, s13
	s_lshl_b64 s[0:1], s[16:17], 2
	s_add_u32 s5, s2, s0
	s_addc_u32 s9, s3, s1
	s_add_i32 s6, s6, 1
	s_lshl_b32 s0, s7, 13
	s_lshl_b32 s1, s8, 9
	s_mul_i32 s6, s14, s6
	s_add_i32 s0, s1, s0
	s_lshl_b32 s1, s6, 14
	s_add_i32 s0, s0, s1
	s_lshl_b32 s1, s6, 5
	v_or_b32_e32 v0, s0, v0
	s_lshl_b32 s0, s12, 5
	s_add_i32 s1, s8, s1
	s_add_i32 s6, s11, -1
	s_add_i32 s0, s1, s0
	v_add_nc_u32_e32 v3, 0xffff8000, v0
	v_mov_b32_e32 v0, s15
	s_add_i32 s0, s0, s10
	s_sub_i32 s0, s0, 64
.LBB2_3:                                ; =>This Inner Loop Header: Depth=1
	v_ashrrev_i32_e32 v4, 31, v3
	s_ashr_i32 s1, s0, 31
	s_lshl_b64 s[10:11], s[0:1], 3
	s_add_u32 s10, s2, s10
	v_lshlrev_b64 v[7:8], 2, v[3:4]
	s_addc_u32 s11, s3, s11
	v_add_nc_u32_e32 v3, 0xffffc000, v3
	s_add_i32 s6, s6, -1
	s_sub_i32 s0, s0, 32
	s_cmp_le_i32 s6, s4
	v_add_co_u32 v7, vcc_lo, s5, v7
	v_add_co_ci_u32_e64 v8, null, s9, v8, vcc_lo
	s_load_dwordx2 s[10:11], s[10:11], 0x0
	global_load_dword v4, v[7:8], off
	v_max_f32_e32 v7, v0, v0
	s_waitcnt lgkmcnt(0)
	v_max_f32_e64 v8, s10, s10
	v_max_f32_e32 v7, v7, v8
	v_sub_f32_e32 v8, s10, v7
	v_sub_f32_e32 v0, v0, v7
	v_mul_f32_e32 v9, 0x3fb8aa3b, v8
	v_mul_f32_e32 v12, 0x3fb8aa3b, v0
	v_cmp_ngt_f32_e32 vcc_lo, 0xc2ce8ed0, v8
	v_fma_f32 v10, 0x3fb8aa3b, v8, -v9
	v_rndne_f32_e32 v11, v9
	v_fma_f32 v13, 0x3fb8aa3b, v0, -v12
	v_rndne_f32_e32 v14, v12
	v_fmac_f32_e32 v10, 0x32a5705f, v8
	v_sub_f32_e32 v9, v9, v11
	v_fmac_f32_e32 v13, 0x32a5705f, v0
	v_cvt_i32_f32_e32 v11, v11
	v_add_f32_e32 v9, v9, v10
	v_sub_f32_e32 v10, v12, v14
	v_exp_f32_e32 v9, v9
	v_add_f32_e32 v10, v10, v13
	v_exp_f32_e32 v10, v10
	v_ldexp_f32 v9, v9, v11
	v_cvt_i32_f32_e32 v11, v14
	v_cndmask_b32_e32 v9, 0, v9, vcc_lo
	v_cmp_nlt_f32_e32 vcc_lo, 0x42b17218, v8
	v_ldexp_f32 v10, v10, v11
	v_mov_b32_e32 v11, v6
	v_cndmask_b32_e32 v9, 0x7f800000, v9, vcc_lo
	v_cmp_ngt_f32_e32 vcc_lo, 0xc2ce8ed0, v0
	v_cndmask_b32_e32 v10, 0, v10, vcc_lo
	v_cmp_le_f32_e32 vcc_lo, 0xc1a00000, v8
	v_cndmask_b32_e32 v8, 0, v9, vcc_lo
	v_cmp_nlt_f32_e32 vcc_lo, 0x42b17218, v0
	s_waitcnt vmcnt(1)
	v_mov_b32_e32 v9, v5
	v_cndmask_b32_e32 v5, 0x7f800000, v10, vcc_lo
	v_mul_f32_e32 v10, s11, v8
	v_cmp_le_f32_e32 vcc_lo, 0xc1a00000, v0
	v_mov_b32_e32 v0, v7
	v_mov_b32_e32 v6, v10
	v_cndmask_b32_e32 v12, 0, v5, vcc_lo
	v_fmac_f32_e32 v6, v11, v12
	s_waitcnt vmcnt(0)
	v_mul_f32_e32 v5, v4, v8
	v_fmac_f32_e32 v5, v9, v12
	s_cbranch_scc0 .LBB2_3
	s_branch .LBB2_5
.LBB2_4:
	s_waitcnt lgkmcnt(0)
	v_mov_b32_e32 v6, s13
.LBB2_5:
	s_waitcnt vmcnt(0)
	v_div_scale_f32 v0, null, v6, v6, v5
	v_rcp_f32_e32 v3, v0
	v_fma_f32 v4, -v0, v3, 1.0
	v_fmac_f32_e32 v3, v4, v3
	v_div_scale_f32 v4, vcc_lo, v5, v6, v5
	v_mul_f32_e32 v7, v4, v3
	v_fma_f32 v8, -v0, v7, v4
	v_fmac_f32_e32 v7, v8, v3
	v_fma_f32 v0, -v0, v7, v4
	v_div_fmas_f32 v0, v0, v3, v7
	v_div_fixup_f32 v0, v0, v6, v5
	global_store_dword v[1:2], v0, off
.LBB2_6:
	s_endpgm
	.section	.rodata,"a",@progbits
	.p2align	6, 0x0
	.amdhsa_kernel _ZL33flash_attn_stream_k_fixup_uniformILi512ELi2ELi16EEvPfPK15HIP_vector_typeIfLj2EEiiiiiiS1_IjLj3EES5_S5_
		.amdhsa_group_segment_fixed_size 0
		.amdhsa_private_segment_fixed_size 0
		.amdhsa_kernarg_size 76
		.amdhsa_user_sgpr_count 6
		.amdhsa_user_sgpr_private_segment_buffer 1
		.amdhsa_user_sgpr_dispatch_ptr 0
		.amdhsa_user_sgpr_queue_ptr 0
		.amdhsa_user_sgpr_kernarg_segment_ptr 1
		.amdhsa_user_sgpr_dispatch_id 0
		.amdhsa_user_sgpr_flat_scratch_init 0
		.amdhsa_user_sgpr_private_segment_size 0
		.amdhsa_wavefront_size32 1
		.amdhsa_uses_dynamic_stack 0
		.amdhsa_system_sgpr_private_segment_wavefront_offset 0
		.amdhsa_system_sgpr_workgroup_id_x 1
		.amdhsa_system_sgpr_workgroup_id_y 1
		.amdhsa_system_sgpr_workgroup_id_z 1
		.amdhsa_system_sgpr_workgroup_info 0
		.amdhsa_system_vgpr_workitem_id 0
		.amdhsa_next_free_vgpr 15
		.amdhsa_next_free_sgpr 24
		.amdhsa_reserve_vcc 1
		.amdhsa_reserve_flat_scratch 0
		.amdhsa_float_round_mode_32 0
		.amdhsa_float_round_mode_16_64 0
		.amdhsa_float_denorm_mode_32 3
		.amdhsa_float_denorm_mode_16_64 3
		.amdhsa_dx10_clamp 1
		.amdhsa_ieee_mode 1
		.amdhsa_fp16_overflow 0
		.amdhsa_workgroup_processor_mode 1
		.amdhsa_memory_ordered 1
		.amdhsa_forward_progress 1
		.amdhsa_shared_vgpr_count 0
		.amdhsa_exception_fp_ieee_invalid_op 0
		.amdhsa_exception_fp_denorm_src 0
		.amdhsa_exception_fp_ieee_div_zero 0
		.amdhsa_exception_fp_ieee_overflow 0
		.amdhsa_exception_fp_ieee_underflow 0
		.amdhsa_exception_fp_ieee_inexact 0
		.amdhsa_exception_int_div_zero 0
	.end_amdhsa_kernel
	.section	.text._ZL33flash_attn_stream_k_fixup_uniformILi512ELi2ELi16EEvPfPK15HIP_vector_typeIfLj2EEiiiiiiS1_IjLj3EES5_S5_,"axG",@progbits,_ZL33flash_attn_stream_k_fixup_uniformILi512ELi2ELi16EEvPfPK15HIP_vector_typeIfLj2EEiiiiiiS1_IjLj3EES5_S5_,comdat
.Lfunc_end2:
	.size	_ZL33flash_attn_stream_k_fixup_uniformILi512ELi2ELi16EEvPfPK15HIP_vector_typeIfLj2EEiiiiiiS1_IjLj3EES5_S5_, .Lfunc_end2-_ZL33flash_attn_stream_k_fixup_uniformILi512ELi2ELi16EEvPfPK15HIP_vector_typeIfLj2EEiiiiiiS1_IjLj3EES5_S5_
                                        ; -- End function
	.set _ZL33flash_attn_stream_k_fixup_uniformILi512ELi2ELi16EEvPfPK15HIP_vector_typeIfLj2EEiiiiiiS1_IjLj3EES5_S5_.num_vgpr, 15
	.set _ZL33flash_attn_stream_k_fixup_uniformILi512ELi2ELi16EEvPfPK15HIP_vector_typeIfLj2EEiiiiiiS1_IjLj3EES5_S5_.num_agpr, 0
	.set _ZL33flash_attn_stream_k_fixup_uniformILi512ELi2ELi16EEvPfPK15HIP_vector_typeIfLj2EEiiiiiiS1_IjLj3EES5_S5_.numbered_sgpr, 24
	.set _ZL33flash_attn_stream_k_fixup_uniformILi512ELi2ELi16EEvPfPK15HIP_vector_typeIfLj2EEiiiiiiS1_IjLj3EES5_S5_.num_named_barrier, 0
	.set _ZL33flash_attn_stream_k_fixup_uniformILi512ELi2ELi16EEvPfPK15HIP_vector_typeIfLj2EEiiiiiiS1_IjLj3EES5_S5_.private_seg_size, 0
	.set _ZL33flash_attn_stream_k_fixup_uniformILi512ELi2ELi16EEvPfPK15HIP_vector_typeIfLj2EEiiiiiiS1_IjLj3EES5_S5_.uses_vcc, 1
	.set _ZL33flash_attn_stream_k_fixup_uniformILi512ELi2ELi16EEvPfPK15HIP_vector_typeIfLj2EEiiiiiiS1_IjLj3EES5_S5_.uses_flat_scratch, 0
	.set _ZL33flash_attn_stream_k_fixup_uniformILi512ELi2ELi16EEvPfPK15HIP_vector_typeIfLj2EEiiiiiiS1_IjLj3EES5_S5_.has_dyn_sized_stack, 0
	.set _ZL33flash_attn_stream_k_fixup_uniformILi512ELi2ELi16EEvPfPK15HIP_vector_typeIfLj2EEiiiiiiS1_IjLj3EES5_S5_.has_recursion, 0
	.set _ZL33flash_attn_stream_k_fixup_uniformILi512ELi2ELi16EEvPfPK15HIP_vector_typeIfLj2EEiiiiiiS1_IjLj3EES5_S5_.has_indirect_call, 0
	.section	.AMDGPU.csdata,"",@progbits
; Kernel info:
; codeLenInByte = 848
; TotalNumSgprs: 26
; NumVgprs: 15
; ScratchSize: 0
; MemoryBound: 0
; FloatMode: 240
; IeeeMode: 1
; LDSByteSize: 0 bytes/workgroup (compile time only)
; SGPRBlocks: 0
; VGPRBlocks: 1
; NumSGPRsForWavesPerEU: 26
; NumVGPRsForWavesPerEU: 15
; Occupancy: 16
; WaveLimiterHint : 0
; COMPUTE_PGM_RSRC2:SCRATCH_EN: 0
; COMPUTE_PGM_RSRC2:USER_SGPR: 6
; COMPUTE_PGM_RSRC2:TRAP_HANDLER: 0
; COMPUTE_PGM_RSRC2:TGID_X_EN: 1
; COMPUTE_PGM_RSRC2:TGID_Y_EN: 1
; COMPUTE_PGM_RSRC2:TGID_Z_EN: 1
; COMPUTE_PGM_RSRC2:TIDIG_COMP_CNT: 0
	.section	.text._ZL33flash_attn_stream_k_fixup_generalILi512ELi2ELi16EEvPfPK15HIP_vector_typeIfLj2EEiiiiS1_IjLj3EES5_S5_S5_,"axG",@progbits,_ZL33flash_attn_stream_k_fixup_generalILi512ELi2ELi16EEvPfPK15HIP_vector_typeIfLj2EEiiiiS1_IjLj3EES5_S5_S5_,comdat
	.globl	_ZL33flash_attn_stream_k_fixup_generalILi512ELi2ELi16EEvPfPK15HIP_vector_typeIfLj2EEiiiiS1_IjLj3EES5_S5_S5_ ; -- Begin function _ZL33flash_attn_stream_k_fixup_generalILi512ELi2ELi16EEvPfPK15HIP_vector_typeIfLj2EEiiiiS1_IjLj3EES5_S5_S5_
	.p2align	8
	.type	_ZL33flash_attn_stream_k_fixup_generalILi512ELi2ELi16EEvPfPK15HIP_vector_typeIfLj2EEiiiiS1_IjLj3EES5_S5_S5_,@function
_ZL33flash_attn_stream_k_fixup_generalILi512ELi2ELi16EEvPfPK15HIP_vector_typeIfLj2EEiiiiS1_IjLj3EES5_S5_S5_: ; @_ZL33flash_attn_stream_k_fixup_generalILi512ELi2ELi16EEvPfPK15HIP_vector_typeIfLj2EEiiiiS1_IjLj3EES5_S5_S5_
; %bb.0:
	s_clause 0x1
	s_load_dwordx4 s[0:3], s[4:5], 0x10
	s_load_dword s9, s[4:5], 0x50
	s_mov_b32 s16, 0
	s_waitcnt lgkmcnt(0)
	s_mul_hi_i32 s17, s3, s6
	s_mul_i32 s18, s3, s6
	s_cmp_lg_u64 s[16:17], 0
	s_cbranch_scc0 .LBB3_21
; %bb.1:
	s_add_u32 s10, s9, 0
	s_addc_u32 s11, 0, 0
	s_xor_b64 s[10:11], s[10:11], 0
	v_cvt_f32_u32_e32 v1, s10
	v_cvt_f32_u32_e32 v2, s11
	s_sub_u32 s14, 0, s10
	s_subb_u32 s15, 0, s11
	v_fmamk_f32 v1, v2, 0x4f800000, v1
	v_rcp_f32_e32 v1, v1
	v_mul_f32_e32 v1, 0x5f7ffffc, v1
	v_mul_f32_e32 v2, 0x2f800000, v1
	v_trunc_f32_e32 v2, v2
	v_fmamk_f32 v1, v2, 0xcf800000, v1
	v_cvt_u32_f32_e32 v2, v2
	v_cvt_u32_f32_e32 v1, v1
	v_readfirstlane_b32 s12, v2
	v_readfirstlane_b32 s13, v1
	s_mul_i32 s19, s14, s12
	s_mul_hi_u32 s21, s14, s13
	s_mul_i32 s20, s15, s13
	s_add_i32 s19, s21, s19
	s_mul_i32 s22, s14, s13
	s_add_i32 s19, s19, s20
	s_mul_hi_u32 s21, s13, s22
	s_mul_i32 s24, s13, s19
	s_mul_hi_u32 s23, s12, s22
	s_mul_i32 s20, s12, s22
	s_mul_hi_u32 s22, s13, s19
	s_add_u32 s21, s21, s24
	s_addc_u32 s22, 0, s22
	s_mul_hi_u32 s25, s12, s19
	s_add_u32 s20, s21, s20
	s_mul_i32 s19, s12, s19
	s_addc_u32 s20, s22, s23
	s_addc_u32 s21, s25, 0
	s_add_u32 s19, s20, s19
	s_addc_u32 s20, 0, s21
	s_add_u32 s13, s13, s19
	s_cselect_b32 s19, -1, 0
	s_mul_hi_u32 s21, s14, s13
	s_cmp_lg_u32 s19, 0
	s_mul_i32 s19, s14, s13
	s_addc_u32 s12, s12, s20
	s_mul_i32 s15, s15, s13
	s_mul_i32 s14, s14, s12
	s_mul_hi_u32 s20, s13, s19
	s_add_i32 s14, s21, s14
	s_mul_hi_u32 s21, s12, s19
	s_add_i32 s14, s14, s15
	s_mul_i32 s15, s12, s19
	s_mul_i32 s23, s13, s14
	s_mul_hi_u32 s22, s13, s14
	s_add_u32 s20, s20, s23
	s_addc_u32 s22, 0, s22
	s_mul_hi_u32 s19, s12, s14
	s_add_u32 s15, s20, s15
	s_mul_i32 s14, s12, s14
	s_addc_u32 s15, s22, s21
	s_addc_u32 s19, s19, 0
	s_add_u32 s14, s15, s14
	s_addc_u32 s15, 0, s19
	s_add_u32 s19, s13, s14
	s_cselect_b32 s13, -1, 0
	s_cmp_lg_u32 s13, 0
	s_addc_u32 s20, s12, s15
	s_ashr_i32 s12, s17, 31
	s_add_u32 s14, s18, s12
	s_mov_b32 s13, s12
	s_addc_u32 s15, s17, s12
	s_xor_b64 s[14:15], s[14:15], s[12:13]
	s_mul_i32 s21, s14, s20
	s_mul_hi_u32 s22, s14, s19
	s_mul_hi_u32 s17, s14, s20
	;; [unrolled: 1-line block ×3, first 2 shown]
	s_mul_i32 s19, s15, s19
	s_add_u32 s21, s22, s21
	s_addc_u32 s17, 0, s17
	s_mul_hi_u32 s23, s15, s20
	s_add_u32 s19, s21, s19
	s_mul_i32 s20, s15, s20
	s_addc_u32 s17, s17, s24
	s_addc_u32 s19, s23, 0
	s_add_u32 s17, s17, s20
	s_addc_u32 s19, 0, s19
	s_mul_hi_u32 s20, s10, s17
	s_mul_i32 s21, s10, s19
	s_mul_i32 s22, s11, s17
	s_add_i32 s20, s20, s21
	s_mul_i32 s21, s10, s17
	s_add_i32 s20, s20, s22
	s_sub_i32 s22, s15, s20
	s_sub_u32 s14, s14, s21
	s_cselect_b32 s21, -1, 0
	s_cmp_lg_u32 s21, 0
	s_subb_u32 s22, s22, s11
	s_sub_u32 s23, s14, s10
	s_cselect_b32 s24, -1, 0
	s_cmp_lg_u32 s24, 0
	s_subb_u32 s22, s22, 0
	s_cmp_ge_u32 s22, s11
	s_cselect_b32 s24, -1, 0
	s_cmp_ge_u32 s23, s10
	s_cselect_b32 s23, -1, 0
	s_cmp_eq_u32 s22, s11
	s_cselect_b32 s22, s23, s24
	s_add_u32 s23, s17, 1
	s_addc_u32 s24, s19, 0
	s_add_u32 s25, s17, 2
	s_addc_u32 s26, s19, 0
	s_cmp_lg_u32 s22, 0
	s_cselect_b32 s22, s25, s23
	s_cselect_b32 s23, s26, s24
	s_cmp_lg_u32 s21, 0
	s_subb_u32 s15, s15, s20
	s_cmp_ge_u32 s15, s11
	s_cselect_b32 s20, -1, 0
	s_cmp_ge_u32 s14, s10
	s_cselect_b32 s10, -1, 0
	s_cmp_eq_u32 s15, s11
	s_cselect_b32 s10, s10, s20
	s_cmp_lg_u32 s10, 0
	s_cselect_b32 s11, s23, s19
	s_cselect_b32 s10, s22, s17
	s_xor_b64 s[12:13], s[12:13], 0
	s_xor_b64 s[10:11], s[10:11], s[12:13]
	s_sub_u32 s10, s10, s12
	s_load_dwordx4 s[12:15], s[4:5], 0x44
	s_andn2_b32 vcc_lo, exec_lo, s16
	s_cbranch_vccnz .LBB3_3
.LBB3_2:
	v_cvt_f32_u32_e32 v1, s9
	s_sub_i32 s11, 0, s9
	v_rcp_iflag_f32_e32 v1, v1
	v_mul_f32_e32 v1, 0x4f7ffffe, v1
	v_cvt_u32_f32_e32 v1, v1
	v_readfirstlane_b32 s10, v1
	s_mul_i32 s11, s11, s10
	s_mul_hi_u32 s11, s10, s11
	s_add_i32 s10, s10, s11
	s_mul_hi_u32 s10, s18, s10
	s_mul_i32 s11, s10, s9
	s_waitcnt lgkmcnt(0)
	s_add_i32 s15, s10, 1
	s_sub_i32 s11, s18, s11
	s_sub_i32 s16, s11, s9
	s_cmp_ge_u32 s11, s9
	s_cselect_b32 s10, s15, s10
	s_cselect_b32 s11, s16, s11
	s_add_i32 s15, s10, 1
	s_cmp_ge_u32 s11, s9
	s_cselect_b32 s10, s15, s10
.LBB3_3:
	s_add_i32 s11, s6, 1
	s_mov_b32 s16, 0
	s_mul_hi_i32 s17, s3, s11
	s_mul_i32 s11, s3, s11
	s_cmp_lg_u64 s[16:17], 0
	s_cbranch_scc0 .LBB3_22
; %bb.4:
	s_add_u32 s18, s9, 0
	s_addc_u32 s19, 0, 0
	s_xor_b64 s[18:19], s[18:19], 0
	v_cvt_f32_u32_e32 v1, s18
	v_cvt_f32_u32_e32 v2, s19
	s_sub_u32 s21, 0, s18
	s_subb_u32 s22, 0, s19
	v_fmamk_f32 v1, v2, 0x4f800000, v1
	v_rcp_f32_e32 v1, v1
	v_mul_f32_e32 v1, 0x5f7ffffc, v1
	v_mul_f32_e32 v2, 0x2f800000, v1
	v_trunc_f32_e32 v2, v2
	v_fmamk_f32 v1, v2, 0xcf800000, v1
	v_cvt_u32_f32_e32 v2, v2
	v_cvt_u32_f32_e32 v1, v1
	s_waitcnt lgkmcnt(0)
	v_readfirstlane_b32 s15, v2
	v_readfirstlane_b32 s20, v1
	s_mul_i32 s23, s21, s15
	s_mul_hi_u32 s25, s21, s20
	s_mul_i32 s24, s22, s20
	s_add_i32 s23, s25, s23
	s_mul_i32 s26, s21, s20
	s_add_i32 s23, s23, s24
	s_mul_hi_u32 s25, s20, s26
	s_mul_i32 s28, s20, s23
	s_mul_hi_u32 s27, s15, s26
	s_mul_i32 s24, s15, s26
	s_mul_hi_u32 s26, s20, s23
	s_add_u32 s25, s25, s28
	s_addc_u32 s26, 0, s26
	s_mul_hi_u32 s29, s15, s23
	s_add_u32 s24, s25, s24
	s_mul_i32 s23, s15, s23
	s_addc_u32 s24, s26, s27
	s_addc_u32 s25, s29, 0
	s_add_u32 s23, s24, s23
	s_addc_u32 s24, 0, s25
	s_add_u32 s20, s20, s23
	s_cselect_b32 s23, -1, 0
	s_mul_hi_u32 s25, s21, s20
	s_cmp_lg_u32 s23, 0
	s_mul_i32 s23, s21, s20
	s_addc_u32 s15, s15, s24
	s_mul_i32 s22, s22, s20
	s_mul_i32 s21, s21, s15
	s_mul_hi_u32 s24, s20, s23
	s_add_i32 s21, s25, s21
	s_mul_hi_u32 s25, s15, s23
	s_add_i32 s21, s21, s22
	s_mul_i32 s22, s15, s23
	s_mul_i32 s27, s20, s21
	s_mul_hi_u32 s26, s20, s21
	s_add_u32 s24, s24, s27
	s_addc_u32 s26, 0, s26
	s_mul_hi_u32 s23, s15, s21
	s_add_u32 s22, s24, s22
	s_mul_i32 s21, s15, s21
	s_addc_u32 s22, s26, s25
	s_addc_u32 s23, s23, 0
	s_add_u32 s21, s22, s21
	s_addc_u32 s22, 0, s23
	s_add_u32 s24, s20, s21
	s_cselect_b32 s20, -1, 0
	s_cmp_lg_u32 s20, 0
	s_addc_u32 s15, s15, s22
	s_ashr_i32 s20, s17, 31
	s_add_u32 s22, s11, s20
	s_mov_b32 s21, s20
	s_addc_u32 s23, s17, s20
	s_xor_b64 s[22:23], s[22:23], s[20:21]
	s_mul_i32 s25, s22, s15
	s_mul_hi_u32 s26, s22, s24
	s_mul_hi_u32 s17, s22, s15
	;; [unrolled: 1-line block ×3, first 2 shown]
	s_mul_i32 s24, s23, s24
	s_add_u32 s25, s26, s25
	s_addc_u32 s17, 0, s17
	s_mul_hi_u32 s27, s23, s15
	s_add_u32 s24, s25, s24
	s_mul_i32 s15, s23, s15
	s_addc_u32 s17, s17, s28
	s_addc_u32 s24, s27, 0
	s_add_u32 s15, s17, s15
	s_addc_u32 s17, 0, s24
	s_mul_hi_u32 s24, s18, s15
	s_mul_i32 s25, s18, s17
	s_mul_i32 s26, s19, s15
	s_add_i32 s24, s24, s25
	s_mul_i32 s25, s18, s15
	s_add_i32 s24, s24, s26
	s_sub_i32 s26, s23, s24
	s_sub_u32 s22, s22, s25
	s_cselect_b32 s25, -1, 0
	s_cmp_lg_u32 s25, 0
	s_subb_u32 s26, s26, s19
	s_sub_u32 s27, s22, s18
	s_cselect_b32 s28, -1, 0
	s_cmp_lg_u32 s28, 0
	s_subb_u32 s26, s26, 0
	s_cmp_ge_u32 s26, s19
	s_cselect_b32 s28, -1, 0
	s_cmp_ge_u32 s27, s18
	s_cselect_b32 s27, -1, 0
	s_cmp_eq_u32 s26, s19
	s_cselect_b32 s26, s27, s28
	s_add_u32 s27, s15, 1
	s_addc_u32 s28, s17, 0
	s_add_u32 s29, s15, 2
	s_addc_u32 s30, s17, 0
	s_cmp_lg_u32 s26, 0
	s_cselect_b32 s26, s29, s27
	s_cselect_b32 s27, s30, s28
	s_cmp_lg_u32 s25, 0
	s_subb_u32 s23, s23, s24
	s_cmp_ge_u32 s23, s19
	s_cselect_b32 s24, -1, 0
	s_cmp_ge_u32 s22, s18
	s_cselect_b32 s18, -1, 0
	s_cmp_eq_u32 s23, s19
	s_cselect_b32 s18, s18, s24
	s_cmp_lg_u32 s18, 0
	s_cselect_b32 s19, s27, s17
	s_cselect_b32 s18, s26, s15
	s_xor_b64 s[20:21], s[20:21], 0
	s_xor_b64 s[18:19], s[18:19], s[20:21]
	s_sub_u32 s18, s18, s20
	s_andn2_b32 vcc_lo, exec_lo, s16
	s_cbranch_vccnz .LBB3_6
.LBB3_5:
	v_cvt_f32_u32_e32 v1, s9
	s_sub_i32 s16, 0, s9
	v_rcp_iflag_f32_e32 v1, v1
	v_mul_f32_e32 v1, 0x4f7ffffe, v1
	v_cvt_u32_f32_e32 v1, v1
	s_waitcnt lgkmcnt(0)
	v_readfirstlane_b32 s15, v1
	s_mul_i32 s16, s16, s15
	s_mul_hi_u32 s16, s15, s16
	s_add_i32 s15, s15, s16
	s_mul_hi_u32 s15, s11, s15
	s_mul_i32 s16, s15, s9
	s_sub_i32 s11, s11, s16
	s_add_i32 s16, s15, 1
	s_sub_i32 s17, s11, s9
	s_cmp_ge_u32 s11, s9
	s_cselect_b32 s15, s16, s15
	s_cselect_b32 s11, s17, s11
	s_add_i32 s16, s15, 1
	s_cmp_ge_u32 s11, s9
	s_cselect_b32 s18, s16, s15
.LBB3_6:
	s_cmp_eq_u32 s10, s18
	s_waitcnt lgkmcnt(0)
	s_mul_hi_u32 s11, s10, s12
	s_cselect_b32 s15, -1, 0
	s_add_i32 s11, s11, s10
	s_lshr_b32 s11, s11, s13
	s_mul_i32 s16, s11, s14
	s_cmp_eq_u32 s16, s10
	s_mul_hi_u32 s16, s18, s12
	s_cselect_b32 s17, -1, 0
	s_add_i32 s16, s16, s18
	s_lshr_b32 s16, s16, s13
	s_cmp_eq_u32 s11, s16
	s_mul_i32 s16, s16, s14
	s_cselect_b32 s19, -1, 0
	s_cmp_lg_u32 s16, s18
	s_cselect_b32 s16, -1, 0
	s_or_b32 s15, s15, s17
	s_and_b32 s16, s19, s16
	s_or_b32 s15, s15, s16
	s_and_b32 vcc_lo, exec_lo, s15
	s_cbranch_vccnz .LBB3_24
; %bb.7:
	s_clause 0x1
	s_load_dwordx8 s[20:27], s[4:5], 0x20
	s_load_dword s16, s[4:5], 0x40
	s_waitcnt lgkmcnt(0)
	s_mul_hi_u32 s15, s10, s20
	s_add_i32 s15, s15, s10
	s_lshr_b32 s15, s15, s21
	s_mul_i32 s17, s15, s22
	s_sub_i32 s17, s10, s17
	s_mul_hi_u32 s18, s17, s23
	s_add_i32 s18, s17, s18
	s_lshr_b32 s22, s18, s24
	s_mul_i32 s18, s22, s25
	s_sub_i32 s17, s17, s18
	s_mul_hi_u32 s18, s17, s26
	s_add_i32 s18, s17, s18
	s_lshr_b32 s18, s18, s27
	s_mul_i32 s16, s18, s16
	s_lshl_b32 s24, s18, 4
	s_sub_i32 s16, s17, s16
	s_mul_hi_u32 s17, s16, s12
	s_add_i32 s16, s16, s17
	s_lshr_b32 s23, s16, s13
	s_lshl_b32 s16, s23, 1
	s_add_i32 s16, s16, s7
	s_cmp_lt_i32 s16, s0
	s_cselect_b32 s16, -1, 0
	s_add_i32 s17, s24, s8
	s_cmp_lt_i32 s17, s2
	s_cselect_b32 s17, -1, 0
	s_and_b32 s16, s16, s17
	s_andn2_b32 vcc_lo, exec_lo, s16
	s_cbranch_vccnz .LBB3_24
; %bb.8:
	s_load_dwordx4 s[16:19], s[4:5], 0x0
	s_mov_b32 s4, 0
	s_lshl_b32 s20, s9, 7
	s_mov_b32 s21, s4
	s_lshl_b32 s5, s7, 4
	s_lshl_b64 s[20:21], s[20:21], 2
	s_mul_i32 s0, s15, s0
	s_add_i32 s15, s5, s8
	s_mul_i32 s22, s22, s2
	v_cvt_f32_u32_e32 v4, s9
	v_rcp_iflag_f32_e32 v4, v4
	s_waitcnt lgkmcnt(0)
	s_add_u32 s20, s18, s20
	s_addc_u32 s21, s19, s21
	s_add_i32 s0, s0, s7
	s_mul_i32 s0, s0, s1
	s_mul_i32 s1, s1, s23
	s_add_i32 s0, s0, s8
	s_lshl_b32 s1, s1, 10
	s_add_i32 s0, s0, s22
	v_mul_f32_e32 v4, 0x4f7ffffe, v4
	s_add_i32 s0, s0, s24
	s_lshl_b32 s0, s0, 9
	s_add_i32 s1, s1, s0
	s_lshl_b32 s0, s6, 5
	v_or_b32_e32 v1, s1, v0
	s_add_i32 s0, s15, s0
	v_lshl_or_b32 v0, s15, 9, v0
	s_ashr_i32 s1, s0, 31
	v_cvt_u32_f32_e32 v4, v4
	v_ashrrev_i32_e32 v2, 31, v1
	s_lshl_b64 s[0:1], s[0:1], 3
	s_add_u32 s0, s18, s0
	s_addc_u32 s1, s19, s1
	v_lshlrev_b64 v[1:2], 2, v[1:2]
	s_load_dwordx2 s[0:1], s[0:1], 0x0
	s_add_i32 s8, s6, -1
	s_sub_i32 s2, 0, s9
	v_add_co_u32 v1, vcc_lo, s16, v1
	v_add_co_ci_u32_e64 v2, null, s17, v2, vcc_lo
	global_load_dword v3, v[1:2], off
	s_waitcnt lgkmcnt(0)
	v_mov_b32_e32 v5, s1
	v_mov_b32_e32 v6, s0
.LBB3_9:                                ; =>This Inner Loop Header: Depth=1
	s_mul_hi_i32 s5, s8, s3
	s_mul_i32 s6, s8, s3
	s_cmp_lg_u64 s[4:5], 0
	s_mov_b32 s7, -1
                                        ; implicit-def: $sgpr0_sgpr1
	s_cbranch_scc0 .LBB3_11
; %bb.10:                               ;   in Loop: Header=BB3_9 Depth=1
	s_add_u32 s0, s9, 0
	s_addc_u32 s1, 0, 0
	s_xor_b64 s[0:1], s[0:1], 0
	v_cvt_f32_u32_e32 v7, s0
	v_cvt_f32_u32_e32 v8, s1
	s_sub_u32 s17, 0, s0
	s_subb_u32 s22, 0, s1
	v_fmac_f32_e32 v7, 0x4f800000, v8
	v_rcp_f32_e32 v7, v7
	v_mul_f32_e32 v7, 0x5f7ffffc, v7
	v_mul_f32_e32 v8, 0x2f800000, v7
	v_trunc_f32_e32 v8, v8
	v_fmac_f32_e32 v7, 0xcf800000, v8
	v_cvt_u32_f32_e32 v8, v8
	v_cvt_u32_f32_e32 v7, v7
	v_readfirstlane_b32 s7, v8
	v_readfirstlane_b32 s16, v7
	s_mul_i32 s23, s17, s7
	s_mul_hi_u32 s25, s17, s16
	s_mul_i32 s24, s22, s16
	s_add_i32 s23, s25, s23
	s_mul_i32 s26, s17, s16
	s_add_i32 s23, s23, s24
	s_mul_hi_u32 s25, s16, s26
	s_mul_i32 s28, s16, s23
	s_mul_hi_u32 s27, s7, s26
	s_mul_i32 s24, s7, s26
	s_mul_hi_u32 s26, s16, s23
	s_add_u32 s25, s25, s28
	s_addc_u32 s26, 0, s26
	s_mul_hi_u32 s29, s7, s23
	s_add_u32 s24, s25, s24
	s_mul_i32 s23, s7, s23
	s_addc_u32 s24, s26, s27
	s_addc_u32 s25, s29, 0
	s_add_u32 s23, s24, s23
	s_addc_u32 s24, 0, s25
	s_add_u32 s16, s16, s23
	s_cselect_b32 s23, -1, 0
	s_mul_hi_u32 s25, s17, s16
	s_cmp_lg_u32 s23, 0
	s_mul_i32 s23, s17, s16
	s_addc_u32 s7, s7, s24
	s_mul_i32 s22, s22, s16
	s_mul_i32 s17, s17, s7
	s_mul_hi_u32 s24, s16, s23
	s_add_i32 s17, s25, s17
	s_mul_hi_u32 s25, s7, s23
	s_add_i32 s17, s17, s22
	s_mul_i32 s22, s7, s23
	s_mul_i32 s27, s16, s17
	s_mul_hi_u32 s26, s16, s17
	s_add_u32 s24, s24, s27
	s_addc_u32 s26, 0, s26
	s_mul_hi_u32 s23, s7, s17
	s_add_u32 s22, s24, s22
	s_mul_i32 s17, s7, s17
	s_addc_u32 s22, s26, s25
	s_addc_u32 s23, s23, 0
	s_add_u32 s17, s22, s17
	s_addc_u32 s22, 0, s23
	s_add_u32 s24, s16, s17
	s_cselect_b32 s16, -1, 0
	s_cmp_lg_u32 s16, 0
	s_addc_u32 s7, s7, s22
	s_ashr_i32 s16, s5, 31
	s_add_u32 s22, s6, s16
	s_mov_b32 s17, s16
	s_addc_u32 s23, s5, s16
	s_xor_b64 s[22:23], s[22:23], s[16:17]
	s_mul_i32 s25, s22, s7
	s_mul_hi_u32 s26, s22, s24
	s_mul_hi_u32 s5, s22, s7
	;; [unrolled: 1-line block ×3, first 2 shown]
	s_mul_i32 s24, s23, s24
	s_add_u32 s25, s26, s25
	s_addc_u32 s5, 0, s5
	s_mul_hi_u32 s27, s23, s7
	s_add_u32 s24, s25, s24
	s_mul_i32 s7, s23, s7
	s_addc_u32 s5, s5, s28
	s_addc_u32 s24, s27, 0
	s_add_u32 s5, s5, s7
	s_addc_u32 s7, 0, s24
	s_mul_hi_u32 s24, s0, s5
	s_mul_i32 s25, s0, s7
	s_mul_i32 s26, s1, s5
	s_add_i32 s24, s24, s25
	s_mul_i32 s25, s0, s5
	s_add_i32 s24, s24, s26
	s_sub_i32 s26, s23, s24
	s_sub_u32 s22, s22, s25
	s_cselect_b32 s25, -1, 0
	s_cmp_lg_u32 s25, 0
	s_subb_u32 s26, s26, s1
	s_sub_u32 s27, s22, s0
	s_cselect_b32 s28, -1, 0
	s_cmp_lg_u32 s28, 0
	s_subb_u32 s26, s26, 0
	s_cmp_ge_u32 s26, s1
	s_cselect_b32 s28, -1, 0
	s_cmp_ge_u32 s27, s0
	s_cselect_b32 s27, -1, 0
	s_cmp_eq_u32 s26, s1
	s_cselect_b32 s26, s27, s28
	s_add_u32 s27, s5, 1
	s_addc_u32 s28, s7, 0
	s_add_u32 s29, s5, 2
	s_addc_u32 s30, s7, 0
	s_cmp_lg_u32 s26, 0
	s_cselect_b32 s26, s29, s27
	s_cselect_b32 s27, s30, s28
	s_cmp_lg_u32 s25, 0
	s_subb_u32 s23, s23, s24
	s_cmp_ge_u32 s23, s1
	s_cselect_b32 s24, -1, 0
	s_cmp_ge_u32 s22, s0
	s_cselect_b32 s0, -1, 0
	s_cmp_eq_u32 s23, s1
	s_cselect_b32 s0, s0, s24
	s_cmp_lg_u32 s0, 0
	s_cselect_b32 s1, s27, s7
	s_cselect_b32 s0, s26, s5
	s_xor_b64 s[16:17], s[16:17], 0
	s_mov_b32 s7, 0
	s_xor_b64 s[0:1], s[0:1], s[16:17]
	s_sub_u32 s0, s0, s16
.LBB3_11:                               ;   in Loop: Header=BB3_9 Depth=1
	s_andn2_b32 vcc_lo, exec_lo, s7
	s_cbranch_vccnz .LBB3_13
; %bb.12:                               ;   in Loop: Header=BB3_9 Depth=1
	v_readfirstlane_b32 s0, v4
	s_mul_i32 s1, s2, s0
	s_mul_hi_u32 s1, s0, s1
	s_add_i32 s0, s0, s1
	s_mul_hi_u32 s0, s6, s0
	s_mul_i32 s1, s0, s9
	s_add_i32 s5, s0, 1
	s_sub_i32 s1, s6, s1
	s_sub_i32 s6, s1, s9
	s_cmp_ge_u32 s1, s9
	s_cselect_b32 s0, s5, s0
	s_cselect_b32 s1, s6, s1
	s_add_i32 s5, s0, 1
	s_cmp_ge_u32 s1, s9
	s_cselect_b32 s0, s5, s0
.LBB3_13:                               ;   in Loop: Header=BB3_9 Depth=1
	s_cmp_lg_u32 s10, s0
	s_mov_b32 s6, -1
                                        ; implicit-def: $sgpr5
                                        ; implicit-def: $vgpr8
                                        ; implicit-def: $vgpr7
                                        ; implicit-def: $vgpr9
                                        ; implicit-def: $sgpr1
                                        ; implicit-def: $sgpr16
	s_cbranch_scc0 .LBB3_18
; %bb.14:                               ;   in Loop: Header=BB3_9 Depth=1
	s_add_i32 s1, s8, s9
	s_mov_b32 s7, s4
	s_lshl_b32 s1, s1, 5
	s_mov_b32 s16, s10
	s_add_i32 s6, s1, s15
	s_mul_hi_u32 s1, s0, s12
	s_lshl_b64 s[6:7], s[6:7], 3
	s_add_u32 s6, s18, s6
	s_addc_u32 s7, s19, s7
	s_add_i32 s1, s1, s0
	s_lshr_b32 s1, s1, s13
	s_mul_i32 s5, s1, s14
	s_cmp_eq_u32 s5, s0
	s_cselect_b32 s5, -1, 0
	s_cmp_lt_u32 s1, s11
	s_cselect_b32 s1, -1, 0
	s_or_b32 s1, s1, s5
	s_mov_b32 s5, -1
	s_and_b32 vcc_lo, exec_lo, s1
	s_mov_b32 s1, s8
	s_cbranch_vccnz .LBB3_16
; %bb.15:                               ;   in Loop: Header=BB3_9 Depth=1
	s_add_i32 s1, s8, -1
	s_mov_b32 s5, 0
	s_mov_b32 s16, s0
.LBB3_16:                               ;   in Loop: Header=BB3_9 Depth=1
	v_lshl_add_u32 v7, s8, 14, v0
	s_load_dwordx2 s[6:7], s[6:7], 0x0
	v_ashrrev_i32_e32 v8, 31, v7
	v_lshlrev_b64 v[7:8], 2, v[7:8]
	v_add_co_u32 v7, vcc_lo, s20, v7
	v_add_co_ci_u32_e64 v8, null, s21, v8, vcc_lo
	s_waitcnt lgkmcnt(0)
	v_max_f32_e64 v9, s6, s6
	global_load_dword v8, v[7:8], off
	v_max_f32_e32 v7, v6, v6
	v_max_f32_e32 v7, v7, v9
	v_sub_f32_e32 v9, s6, v7
	v_sub_f32_e32 v10, v6, v7
	v_mul_f32_e32 v11, 0x3fb8aa3b, v9
	v_mul_f32_e32 v12, 0x3fb8aa3b, v10
	v_cmp_ngt_f32_e32 vcc_lo, 0xc2ce8ed0, v9
	v_fma_f32 v13, 0x3fb8aa3b, v9, -v11
	v_rndne_f32_e32 v14, v11
	v_fma_f32 v15, 0x3fb8aa3b, v10, -v12
	v_rndne_f32_e32 v16, v12
	v_fmac_f32_e32 v13, 0x32a5705f, v9
	v_sub_f32_e32 v11, v11, v14
	v_fmac_f32_e32 v15, 0x32a5705f, v10
	v_sub_f32_e32 v12, v12, v16
	v_add_f32_e32 v11, v11, v13
	v_cvt_i32_f32_e32 v13, v14
	v_add_f32_e32 v12, v12, v15
	v_cvt_i32_f32_e32 v14, v16
	v_exp_f32_e32 v11, v11
	v_exp_f32_e32 v12, v12
	v_ldexp_f32 v11, v11, v13
	v_ldexp_f32 v12, v12, v14
	v_cndmask_b32_e32 v11, 0, v11, vcc_lo
	v_cmp_ngt_f32_e32 vcc_lo, 0xc2ce8ed0, v10
	v_cndmask_b32_e32 v12, 0, v12, vcc_lo
	v_cmp_nlt_f32_e32 vcc_lo, 0x42b17218, v9
	v_cndmask_b32_e32 v11, 0x7f800000, v11, vcc_lo
	v_cmp_nlt_f32_e32 vcc_lo, 0x42b17218, v10
	v_cndmask_b32_e32 v12, 0x7f800000, v12, vcc_lo
	v_cmp_le_f32_e32 vcc_lo, 0xc1a00000, v9
	v_cndmask_b32_e32 v9, 0, v11, vcc_lo
	v_cmp_le_f32_e32 vcc_lo, 0xc1a00000, v10
	v_cndmask_b32_e32 v10, 0, v12, vcc_lo
	s_waitcnt vmcnt(0)
	v_mul_f32_e32 v8, v8, v9
	v_mul_f32_e32 v9, s7, v9
	v_fmac_f32_e32 v8, v3, v10
	v_fmac_f32_e32 v9, v5, v10
	s_cbranch_execz .LBB3_19
.LBB3_17:                               ;   in Loop: Header=BB3_9 Depth=1
	s_andn2_b32 vcc_lo, exec_lo, s5
	s_cbranch_vccnz .LBB3_20
	s_branch .LBB3_23
.LBB3_18:                               ;   in Loop: Header=BB3_9 Depth=1
	s_andn2_b32 vcc_lo, exec_lo, s6
	s_cbranch_vccnz .LBB3_17
.LBB3_19:                               ;   in Loop: Header=BB3_9 Depth=1
	v_mov_b32_e32 v9, v5
	v_mov_b32_e32 v7, v6
	s_waitcnt vmcnt(0)
	v_mov_b32_e32 v8, v3
	s_add_i32 s1, s8, -1
	s_mov_b32 s16, s10
	s_cbranch_execz .LBB3_23
.LBB3_20:                               ;   in Loop: Header=BB3_9 Depth=1
	v_mov_b32_e32 v5, v9
	v_mov_b32_e32 v6, v7
	s_waitcnt vmcnt(0)
	v_mov_b32_e32 v3, v8
	s_mov_b32 s10, s16
	s_mov_b32 s8, s1
	s_branch .LBB3_9
.LBB3_21:
                                        ; implicit-def: $sgpr10_sgpr11
	s_load_dwordx4 s[12:15], s[4:5], 0x44
	s_branch .LBB3_2
.LBB3_22:
                                        ; implicit-def: $sgpr18_sgpr19
	s_branch .LBB3_5
.LBB3_23:
	v_div_scale_f32 v0, null, v9, v9, v8
	s_waitcnt vmcnt(0)
	v_rcp_f32_e32 v3, v0
	v_fma_f32 v4, -v0, v3, 1.0
	v_fmac_f32_e32 v3, v4, v3
	v_div_scale_f32 v4, vcc_lo, v8, v9, v8
	v_mul_f32_e32 v5, v4, v3
	v_fma_f32 v6, -v0, v5, v4
	v_fmac_f32_e32 v5, v6, v3
	v_fma_f32 v0, -v0, v5, v4
	v_div_fmas_f32 v0, v0, v3, v5
	v_div_fixup_f32 v0, v0, v9, v8
	global_store_dword v[1:2], v0, off
.LBB3_24:
	s_endpgm
	.section	.rodata,"a",@progbits
	.p2align	6, 0x0
	.amdhsa_kernel _ZL33flash_attn_stream_k_fixup_generalILi512ELi2ELi16EEvPfPK15HIP_vector_typeIfLj2EEiiiiS1_IjLj3EES5_S5_S5_
		.amdhsa_group_segment_fixed_size 0
		.amdhsa_private_segment_fixed_size 0
		.amdhsa_kernarg_size 336
		.amdhsa_user_sgpr_count 6
		.amdhsa_user_sgpr_private_segment_buffer 1
		.amdhsa_user_sgpr_dispatch_ptr 0
		.amdhsa_user_sgpr_queue_ptr 0
		.amdhsa_user_sgpr_kernarg_segment_ptr 1
		.amdhsa_user_sgpr_dispatch_id 0
		.amdhsa_user_sgpr_flat_scratch_init 0
		.amdhsa_user_sgpr_private_segment_size 0
		.amdhsa_wavefront_size32 1
		.amdhsa_uses_dynamic_stack 0
		.amdhsa_system_sgpr_private_segment_wavefront_offset 0
		.amdhsa_system_sgpr_workgroup_id_x 1
		.amdhsa_system_sgpr_workgroup_id_y 1
		.amdhsa_system_sgpr_workgroup_id_z 1
		.amdhsa_system_sgpr_workgroup_info 0
		.amdhsa_system_vgpr_workitem_id 0
		.amdhsa_next_free_vgpr 17
		.amdhsa_next_free_sgpr 31
		.amdhsa_reserve_vcc 1
		.amdhsa_reserve_flat_scratch 0
		.amdhsa_float_round_mode_32 0
		.amdhsa_float_round_mode_16_64 0
		.amdhsa_float_denorm_mode_32 3
		.amdhsa_float_denorm_mode_16_64 3
		.amdhsa_dx10_clamp 1
		.amdhsa_ieee_mode 1
		.amdhsa_fp16_overflow 0
		.amdhsa_workgroup_processor_mode 1
		.amdhsa_memory_ordered 1
		.amdhsa_forward_progress 1
		.amdhsa_shared_vgpr_count 0
		.amdhsa_exception_fp_ieee_invalid_op 0
		.amdhsa_exception_fp_denorm_src 0
		.amdhsa_exception_fp_ieee_div_zero 0
		.amdhsa_exception_fp_ieee_overflow 0
		.amdhsa_exception_fp_ieee_underflow 0
		.amdhsa_exception_fp_ieee_inexact 0
		.amdhsa_exception_int_div_zero 0
	.end_amdhsa_kernel
	.section	.text._ZL33flash_attn_stream_k_fixup_generalILi512ELi2ELi16EEvPfPK15HIP_vector_typeIfLj2EEiiiiS1_IjLj3EES5_S5_S5_,"axG",@progbits,_ZL33flash_attn_stream_k_fixup_generalILi512ELi2ELi16EEvPfPK15HIP_vector_typeIfLj2EEiiiiS1_IjLj3EES5_S5_S5_,comdat
.Lfunc_end3:
	.size	_ZL33flash_attn_stream_k_fixup_generalILi512ELi2ELi16EEvPfPK15HIP_vector_typeIfLj2EEiiiiS1_IjLj3EES5_S5_S5_, .Lfunc_end3-_ZL33flash_attn_stream_k_fixup_generalILi512ELi2ELi16EEvPfPK15HIP_vector_typeIfLj2EEiiiiS1_IjLj3EES5_S5_S5_
                                        ; -- End function
	.set _ZL33flash_attn_stream_k_fixup_generalILi512ELi2ELi16EEvPfPK15HIP_vector_typeIfLj2EEiiiiS1_IjLj3EES5_S5_S5_.num_vgpr, 17
	.set _ZL33flash_attn_stream_k_fixup_generalILi512ELi2ELi16EEvPfPK15HIP_vector_typeIfLj2EEiiiiS1_IjLj3EES5_S5_S5_.num_agpr, 0
	.set _ZL33flash_attn_stream_k_fixup_generalILi512ELi2ELi16EEvPfPK15HIP_vector_typeIfLj2EEiiiiS1_IjLj3EES5_S5_S5_.numbered_sgpr, 31
	.set _ZL33flash_attn_stream_k_fixup_generalILi512ELi2ELi16EEvPfPK15HIP_vector_typeIfLj2EEiiiiS1_IjLj3EES5_S5_S5_.num_named_barrier, 0
	.set _ZL33flash_attn_stream_k_fixup_generalILi512ELi2ELi16EEvPfPK15HIP_vector_typeIfLj2EEiiiiS1_IjLj3EES5_S5_S5_.private_seg_size, 0
	.set _ZL33flash_attn_stream_k_fixup_generalILi512ELi2ELi16EEvPfPK15HIP_vector_typeIfLj2EEiiiiS1_IjLj3EES5_S5_S5_.uses_vcc, 1
	.set _ZL33flash_attn_stream_k_fixup_generalILi512ELi2ELi16EEvPfPK15HIP_vector_typeIfLj2EEiiiiS1_IjLj3EES5_S5_S5_.uses_flat_scratch, 0
	.set _ZL33flash_attn_stream_k_fixup_generalILi512ELi2ELi16EEvPfPK15HIP_vector_typeIfLj2EEiiiiS1_IjLj3EES5_S5_S5_.has_dyn_sized_stack, 0
	.set _ZL33flash_attn_stream_k_fixup_generalILi512ELi2ELi16EEvPfPK15HIP_vector_typeIfLj2EEiiiiS1_IjLj3EES5_S5_S5_.has_recursion, 0
	.set _ZL33flash_attn_stream_k_fixup_generalILi512ELi2ELi16EEvPfPK15HIP_vector_typeIfLj2EEiiiiS1_IjLj3EES5_S5_S5_.has_indirect_call, 0
	.section	.AMDGPU.csdata,"",@progbits
; Kernel info:
; codeLenInByte = 2944
; TotalNumSgprs: 33
; NumVgprs: 17
; ScratchSize: 0
; MemoryBound: 0
; FloatMode: 240
; IeeeMode: 1
; LDSByteSize: 0 bytes/workgroup (compile time only)
; SGPRBlocks: 0
; VGPRBlocks: 2
; NumSGPRsForWavesPerEU: 33
; NumVGPRsForWavesPerEU: 17
; Occupancy: 16
; WaveLimiterHint : 0
; COMPUTE_PGM_RSRC2:SCRATCH_EN: 0
; COMPUTE_PGM_RSRC2:USER_SGPR: 6
; COMPUTE_PGM_RSRC2:TRAP_HANDLER: 0
; COMPUTE_PGM_RSRC2:TGID_X_EN: 1
; COMPUTE_PGM_RSRC2:TGID_Y_EN: 1
; COMPUTE_PGM_RSRC2:TGID_Z_EN: 1
; COMPUTE_PGM_RSRC2:TIDIG_COMP_CNT: 0
	.section	.text._ZL26flash_attn_combine_resultsILi512EEvPKfPK15HIP_vector_typeIfLj2EEPfi,"axG",@progbits,_ZL26flash_attn_combine_resultsILi512EEvPKfPK15HIP_vector_typeIfLj2EEPfi,comdat
	.globl	_ZL26flash_attn_combine_resultsILi512EEvPKfPK15HIP_vector_typeIfLj2EEPfi ; -- Begin function _ZL26flash_attn_combine_resultsILi512EEvPKfPK15HIP_vector_typeIfLj2EEPfi
	.p2align	8
	.type	_ZL26flash_attn_combine_resultsILi512EEvPKfPK15HIP_vector_typeIfLj2EEPfi,@function
_ZL26flash_attn_combine_resultsILi512EEvPKfPK15HIP_vector_typeIfLj2EEPfi: ; @_ZL26flash_attn_combine_resultsILi512EEvPKfPK15HIP_vector_typeIfLj2EEPfi
; %bb.0:
	s_clause 0x3
	s_load_dwordx2 s[2:3], s[4:5], 0x20
	s_load_dword s9, s[4:5], 0x18
	s_load_dwordx4 s[12:15], s[4:5], 0x0
	s_load_dwordx2 s[10:11], s[4:5], 0x10
	v_lshlrev_b32_e32 v5, 2, v0
	s_mov_b32 s4, exec_lo
	s_waitcnt lgkmcnt(0)
	s_mul_i32 s0, s2, s8
	s_lshl_b32 s1, s9, 1
	s_add_i32 s0, s0, s6
	s_mul_i32 s6, s0, s3
	s_add_i32 s6, s6, s7
	s_mul_i32 s2, s6, s9
	v_cmpx_gt_i32_e64 s1, v0
	s_cbranch_execz .LBB4_3
; %bb.1:
	s_ashr_i32 s3, s2, 31
	v_add_nc_u32_e32 v3, 0, v5
	s_lshl_b64 s[16:17], s[2:3], 3
	v_mov_b32_e32 v4, v0
	s_add_u32 s0, s14, s16
	s_addc_u32 s3, s15, s17
	v_add_co_u32 v1, s0, s0, v5
	v_add_co_ci_u32_e64 v2, null, s3, 0, s0
	s_mov_b32 s3, 0
	.p2align	6
.LBB4_2:                                ; =>This Inner Loop Header: Depth=1
	global_load_dword v6, v[1:2], off
	v_add_nc_u32_e32 v4, 0x200, v4
	v_add_co_u32 v1, vcc_lo, 0x800, v1
	v_add_co_ci_u32_e64 v2, null, 0, v2, vcc_lo
	v_cmp_le_i32_e64 s0, s1, v4
	s_or_b32 s3, s0, s3
	s_waitcnt vmcnt(0)
	ds_write_b32 v3, v6
	v_add_nc_u32_e32 v3, 0x800, v3
	s_andn2_b32 exec_lo, exec_lo, s3
	s_cbranch_execnz .LBB4_2
.LBB4_3:
	s_or_b32 exec_lo, exec_lo, s4
	v_mov_b32_e32 v1, 0
	s_waitcnt lgkmcnt(0)
	s_barrier
	buffer_gl0_inv
	s_cmp_lt_i32 s9, 2
	ds_read_b32 v6, v1
	s_cbranch_scc1 .LBB4_11
; %bb.4:
	s_add_i32 s1, s9, -2
	s_add_i32 s0, s9, -1
	s_cmp_lt_u32 s1, 7
	s_cbranch_scc1 .LBB4_8
; %bb.5:
	s_mov_b32 s3, 0
	s_add_i32 s1, 0, 8
	s_and_b32 s4, s0, -8
	.p2align	6
.LBB4_6:                                ; =>This Inner Loop Header: Depth=1
	v_mov_b32_e32 v9, s1
	s_mov_b32 s5, s3
	s_add_i32 s3, s3, 8
	s_add_i32 s1, s1, 64
	s_cmp_eq_u32 s4, s3
	ds_read2_b32 v[1:2], v9 offset1:2
	ds_read2_b32 v[3:4], v9 offset0:4 offset1:6
	ds_read2_b32 v[7:8], v9 offset0:8 offset1:10
	;; [unrolled: 1-line block ×3, first 2 shown]
	s_waitcnt lgkmcnt(3)
	v_max3_f32 v1, v6, v1, v2
	s_waitcnt lgkmcnt(2)
	v_max3_f32 v1, v1, v3, v4
	;; [unrolled: 2-line block ×4, first 2 shown]
	s_cbranch_scc0 .LBB4_6
; %bb.7:
	s_add_i32 s1, s5, 9
	s_and_b32 s0, s0, 7
	s_cmp_eq_u32 s0, 0
	s_cbranch_scc0 .LBB4_9
	s_branch .LBB4_11
.LBB4_8:
	s_mov_b32 s1, 1
	s_and_b32 s0, s0, 7
	s_cmp_eq_u32 s0, 0
	s_cbranch_scc1 .LBB4_11
.LBB4_9:
	s_lshl_b32 s1, s1, 3
	s_add_i32 s1, s1, 0
.LBB4_10:                               ; =>This Inner Loop Header: Depth=1
	v_mov_b32_e32 v1, s1
	s_waitcnt lgkmcnt(0)
	v_max_f32_e32 v2, v6, v6
	s_add_i32 s0, s0, -1
	s_add_i32 s1, s1, 8
	s_cmp_lg_u32 s0, 0
	ds_read_b32 v1, v1
	s_waitcnt lgkmcnt(0)
	v_max_f32_e32 v1, v1, v1
	v_max_f32_e32 v6, v2, v1
	s_cbranch_scc1 .LBB4_10
.LBB4_11:
	s_cmp_lt_i32 s9, 1
	s_cbranch_scc1 .LBB4_16
; %bb.12:
	s_lshl_b32 s0, s2, 9
	s_ashr_i32 s1, s0, 31
	s_lshl_b64 s[0:1], s[0:1], 2
	s_add_u32 s7, s12, s0
	s_addc_u32 s8, s13, s1
	s_cmp_lt_u32 s9, 8
	s_cbranch_scc1 .LBB4_17
; %bb.13:
	v_or_b32_e32 v1, 0xe00, v0
	v_mov_b32_e32 v4, 0
	v_mov_b32_e32 v7, 0
	;; [unrolled: 1-line block ×3, first 2 shown]
	s_and_b32 s12, s9, 0x7ffffff8
	s_mov_b32 s13, 0
	s_mov_b32 s14, 0
.LBB4_14:                               ; =>This Inner Loop Header: Depth=1
	v_add_nc_u32_e32 v3, 0xfffff200, v1
	v_mov_b32_e32 v2, v4
	v_mov_b32_e32 v21, s14
	s_add_i32 s13, s13, 8
	s_add_i32 s14, s14, 64
	v_lshlrev_b64 v[9:10], 2, v[3:4]
	v_add_nc_u32_e32 v3, 0xfffff400, v1
	v_lshlrev_b64 v[11:12], 2, v[1:2]
	s_cmp_eq_u32 s12, s13
	v_lshlrev_b64 v[13:14], 2, v[3:4]
	v_add_nc_u32_e32 v3, 0xfffff600, v1
	v_add_co_u32 v9, vcc_lo, s7, v9
	v_add_co_ci_u32_e64 v10, null, s8, v10, vcc_lo
	v_add_co_u32 v13, vcc_lo, s7, v13
	v_lshlrev_b64 v[15:16], 2, v[3:4]
	v_add_nc_u32_e32 v3, 0xfffff800, v1
	v_add_co_ci_u32_e64 v14, null, s8, v14, vcc_lo
	s_clause 0x1
	global_load_dword v25, v[9:10], off
	global_load_dword v26, v[13:14], off
	v_lshlrev_b64 v[9:10], 2, v[3:4]
	v_add_nc_u32_e32 v3, 0xfffffa00, v1
	v_add_co_u32 v13, vcc_lo, s7, v15
	v_add_co_ci_u32_e64 v14, null, s8, v16, vcc_lo
	v_add_co_u32 v9, vcc_lo, s7, v9
	v_lshlrev_b64 v[15:16], 2, v[3:4]
	v_add_nc_u32_e32 v3, 0xfffffc00, v1
	v_add_co_ci_u32_e64 v10, null, s8, v10, vcc_lo
	s_clause 0x1
	global_load_dword v27, v[13:14], off
	global_load_dword v28, v[9:10], off
	v_lshlrev_b64 v[13:14], 2, v[3:4]
	v_add_nc_u32_e32 v3, 0xfffffe00, v1
	v_add_co_u32 v9, vcc_lo, s7, v15
	v_add_co_ci_u32_e64 v10, null, s8, v16, vcc_lo
	v_add_co_u32 v13, vcc_lo, s7, v13
	v_lshlrev_b64 v[2:3], 2, v[3:4]
	v_add_co_ci_u32_e64 v14, null, s8, v14, vcc_lo
	s_clause 0x1
	global_load_dword v29, v[9:10], off
	global_load_dword v30, v[13:14], off
	v_add_co_u32 v2, vcc_lo, s7, v2
	v_add_co_ci_u32_e64 v3, null, s8, v3, vcc_lo
	v_add_co_u32 v9, vcc_lo, s7, v11
	v_add_co_ci_u32_e64 v10, null, s8, v12, vcc_lo
	s_clause 0x1
	global_load_dword v2, v[2:3], off
	global_load_dword v3, v[9:10], off
	ds_read2_b64 v[9:12], v21 offset1:1
	ds_read2_b64 v[13:16], v21 offset0:2 offset1:3
	ds_read2_b64 v[17:20], v21 offset0:4 offset1:5
	;; [unrolled: 1-line block ×3, first 2 shown]
	v_add_nc_u32_e32 v1, 0x1000, v1
	s_waitcnt lgkmcnt(3)
	v_sub_f32_e32 v9, v9, v6
	v_sub_f32_e32 v11, v11, v6
	s_waitcnt lgkmcnt(2)
	v_sub_f32_e32 v13, v13, v6
	v_sub_f32_e32 v15, v15, v6
	s_waitcnt lgkmcnt(1)
	v_sub_f32_e32 v17, v17, v6
	v_mul_f32_e32 v31, 0x3fb8aa3b, v9
	v_mul_f32_e32 v32, 0x3fb8aa3b, v11
	;; [unrolled: 1-line block ×4, first 2 shown]
	v_sub_f32_e32 v19, v19, v6
	v_fma_f32 v39, 0x3fb8aa3b, v9, -v31
	v_rndne_f32_e32 v40, v31
	v_fma_f32 v41, 0x3fb8aa3b, v11, -v32
	v_rndne_f32_e32 v42, v32
	v_fma_f32 v43, 0x3fb8aa3b, v13, -v33
	v_fmac_f32_e32 v39, 0x32a5705f, v9
	v_sub_f32_e32 v31, v31, v40
	v_rndne_f32_e32 v44, v33
	v_fmac_f32_e32 v41, 0x32a5705f, v11
	v_sub_f32_e32 v32, v32, v42
	v_fmac_f32_e32 v43, 0x32a5705f, v13
	v_add_f32_e32 v31, v31, v39
	v_sub_f32_e32 v33, v33, v44
	v_mul_f32_e32 v35, 0x3fb8aa3b, v17
	v_add_f32_e32 v32, v32, v41
	v_fma_f32 v45, 0x3fb8aa3b, v15, -v34
	v_exp_f32_e32 v31, v31
	v_rndne_f32_e32 v46, v34
	v_add_f32_e32 v33, v33, v43
	v_cvt_i32_f32_e32 v40, v40
	v_exp_f32_e32 v32, v32
	s_waitcnt lgkmcnt(0)
	v_sub_f32_e32 v21, v21, v6
	v_mul_f32_e32 v36, 0x3fb8aa3b, v19
	v_fma_f32 v47, 0x3fb8aa3b, v17, -v35
	v_rndne_f32_e32 v48, v35
	v_cvt_i32_f32_e32 v42, v42
	v_fmac_f32_e32 v45, 0x32a5705f, v15
	v_sub_f32_e32 v34, v34, v46
	v_exp_f32_e32 v33, v33
	v_ldexp_f32 v31, v31, v40
	v_cmp_ngt_f32_e64 s5, 0xc2ce8ed0, v9
	v_sub_f32_e32 v23, v23, v6
	v_mul_f32_e32 v37, 0x3fb8aa3b, v21
	v_fma_f32 v49, 0x3fb8aa3b, v19, -v36
	v_rndne_f32_e32 v50, v36
	v_cvt_i32_f32_e32 v44, v44
	v_fmac_f32_e32 v47, 0x32a5705f, v17
	v_sub_f32_e32 v35, v35, v48
	v_add_f32_e32 v34, v34, v45
	v_ldexp_f32 v32, v32, v42
	v_cndmask_b32_e64 v31, 0, v31, s5
	v_cmp_ngt_f32_e64 s5, 0xc2ce8ed0, v11
	v_mul_f32_e32 v38, 0x3fb8aa3b, v23
	v_fma_f32 v51, 0x3fb8aa3b, v21, -v37
	v_rndne_f32_e32 v39, v37
	v_fmac_f32_e32 v49, 0x32a5705f, v19
	v_sub_f32_e32 v36, v36, v50
	v_add_f32_e32 v35, v35, v47
	v_exp_f32_e32 v34, v34
	v_ldexp_f32 v33, v33, v44
	v_cmp_ngt_f32_e32 vcc_lo, 0xc2ce8ed0, v13
	v_cndmask_b32_e64 v32, 0, v32, s5
	v_cmp_nlt_f32_e64 s5, 0x42b17218, v9
	v_fma_f32 v41, 0x3fb8aa3b, v23, -v38
	v_rndne_f32_e32 v43, v38
	v_cvt_i32_f32_e32 v46, v46
	v_fmac_f32_e32 v51, 0x32a5705f, v21
	v_sub_f32_e32 v37, v37, v39
	v_add_f32_e32 v36, v36, v49
	v_exp_f32_e32 v35, v35
	v_cndmask_b32_e64 v9, 0x7f800000, v31, s5
	v_cndmask_b32_e32 v31, 0, v33, vcc_lo
	v_cmp_nlt_f32_e32 vcc_lo, 0x42b17218, v11
	v_cvt_i32_f32_e32 v48, v48
	v_fmac_f32_e32 v41, 0x32a5705f, v23
	v_sub_f32_e32 v38, v38, v43
	v_add_f32_e32 v37, v37, v51
	v_exp_f32_e32 v36, v36
	v_ldexp_f32 v34, v34, v46
	v_cmp_ngt_f32_e64 s0, 0xc2ce8ed0, v15
	v_cndmask_b32_e32 v11, 0x7f800000, v32, vcc_lo
	v_fmac_f32_e32 v8, v9, v10
	v_cmp_nlt_f32_e32 vcc_lo, 0x42b17218, v13
	v_cvt_i32_f32_e32 v50, v50
	v_add_f32_e32 v38, v38, v41
	v_exp_f32_e32 v37, v37
	v_ldexp_f32 v35, v35, v48
	v_cmp_ngt_f32_e64 s1, 0xc2ce8ed0, v17
	v_cndmask_b32_e32 v10, 0x7f800000, v31, vcc_lo
	v_fmac_f32_e32 v8, v11, v12
	v_cmp_nlt_f32_e32 vcc_lo, 0x42b17218, v15
	v_cvt_i32_f32_e32 v39, v39
	v_exp_f32_e32 v38, v38
	v_ldexp_f32 v36, v36, v50
	v_cmp_ngt_f32_e64 s2, 0xc2ce8ed0, v19
	v_fmac_f32_e32 v8, v10, v14
	v_cvt_i32_f32_e32 v43, v43
	v_ldexp_f32 v37, v37, v39
	v_cmp_ngt_f32_e64 s3, 0xc2ce8ed0, v21
	v_cmp_ngt_f32_e64 s4, 0xc2ce8ed0, v23
	v_ldexp_f32 v38, v38, v43
	s_waitcnt vmcnt(7)
	v_fmac_f32_e32 v7, v25, v9
	v_cndmask_b32_e64 v9, 0, v34, s0
	s_waitcnt vmcnt(6)
	v_fmac_f32_e32 v7, v26, v11
	v_cndmask_b32_e64 v11, 0, v35, s1
	v_cndmask_b32_e32 v9, 0x7f800000, v9, vcc_lo
	v_cmp_nlt_f32_e32 vcc_lo, 0x42b17218, v17
	v_fmac_f32_e32 v8, v9, v16
	v_cndmask_b32_e32 v11, 0x7f800000, v11, vcc_lo
	v_cmp_nlt_f32_e32 vcc_lo, 0x42b17218, v19
	s_waitcnt vmcnt(5)
	v_fmac_f32_e32 v7, v27, v10
	v_cndmask_b32_e64 v10, 0, v36, s2
	v_fmac_f32_e32 v8, v11, v18
	s_waitcnt vmcnt(4)
	v_fmac_f32_e32 v7, v28, v9
	v_cndmask_b32_e64 v9, 0, v37, s3
	v_cndmask_b32_e32 v10, 0x7f800000, v10, vcc_lo
	v_cmp_nlt_f32_e32 vcc_lo, 0x42b17218, v21
	v_fmac_f32_e32 v8, v10, v20
	v_cndmask_b32_e32 v9, 0x7f800000, v9, vcc_lo
	v_cmp_nlt_f32_e32 vcc_lo, 0x42b17218, v23
	s_waitcnt vmcnt(3)
	v_fmac_f32_e32 v7, v29, v11
	v_cndmask_b32_e64 v11, 0, v38, s4
	v_fmac_f32_e32 v8, v9, v22
	s_waitcnt vmcnt(2)
	v_fmac_f32_e32 v7, v30, v10
	v_cndmask_b32_e32 v10, 0x7f800000, v11, vcc_lo
	s_waitcnt vmcnt(1)
	v_fmac_f32_e32 v7, v2, v9
	v_fmac_f32_e32 v8, v10, v24
	s_waitcnt vmcnt(0)
	v_fmac_f32_e32 v7, v3, v10
	s_cbranch_scc0 .LBB4_14
; %bb.15:
	s_and_b32 s0, s9, 7
	s_cmp_eq_u32 s0, 0
	s_cbranch_scc0 .LBB4_18
	s_branch .LBB4_20
.LBB4_16:
	v_mov_b32_e32 v0, 0x7fc00000
	s_branch .LBB4_21
.LBB4_17:
	v_mov_b32_e32 v7, 0
	v_mov_b32_e32 v8, 0
	s_mov_b32 s12, 0
	s_and_b32 s0, s9, 7
	s_cmp_eq_u32 s0, 0
	s_cbranch_scc1 .LBB4_20
.LBB4_18:
	v_lshl_or_b32 v0, s12, 9, v0
	v_mov_b32_e32 v1, 0
	s_lshl_b32 s1, s12, 3
	s_add_i32 s1, s1, 0
	s_inst_prefetch 0x1
	.p2align	6
.LBB4_19:                               ; =>This Inner Loop Header: Depth=1
	v_lshlrev_b64 v[2:3], 2, v[0:1]
	v_add_nc_u32_e32 v0, 0x200, v0
	s_add_i32 s0, s0, -1
	v_add_co_u32 v2, vcc_lo, s7, v2
	v_add_co_ci_u32_e64 v3, null, s8, v3, vcc_lo
	global_load_dword v4, v[2:3], off
	v_mov_b32_e32 v2, s1
	s_add_i32 s1, s1, 8
	s_cmp_lg_u32 s0, 0
	ds_read_b64 v[2:3], v2
	s_waitcnt lgkmcnt(0)
	v_sub_f32_e32 v2, v2, v6
	v_mul_f32_e32 v9, 0x3fb8aa3b, v2
	v_cmp_ngt_f32_e32 vcc_lo, 0xc2ce8ed0, v2
	v_fma_f32 v10, 0x3fb8aa3b, v2, -v9
	v_rndne_f32_e32 v11, v9
	v_fmac_f32_e32 v10, 0x32a5705f, v2
	v_sub_f32_e32 v9, v9, v11
	v_add_f32_e32 v9, v9, v10
	v_cvt_i32_f32_e32 v10, v11
	v_exp_f32_e32 v9, v9
	v_ldexp_f32 v9, v9, v10
	v_cndmask_b32_e32 v9, 0, v9, vcc_lo
	v_cmp_nlt_f32_e32 vcc_lo, 0x42b17218, v2
	v_cndmask_b32_e32 v2, 0x7f800000, v9, vcc_lo
	v_fmac_f32_e32 v8, v2, v3
	s_waitcnt vmcnt(0)
	v_fmac_f32_e32 v7, v4, v2
	s_cbranch_scc1 .LBB4_19
.LBB4_20:
	s_inst_prefetch 0x2
	v_div_scale_f32 v0, null, v8, v8, v7
	v_rcp_f32_e32 v1, v0
	v_fma_f32 v2, -v0, v1, 1.0
	v_fmac_f32_e32 v1, v2, v1
	v_div_scale_f32 v2, vcc_lo, v7, v8, v7
	v_mul_f32_e32 v3, v2, v1
	v_fma_f32 v4, -v0, v3, v2
	v_fmac_f32_e32 v3, v4, v1
	v_fma_f32 v0, -v0, v3, v2
	v_div_fmas_f32 v0, v0, v1, v3
	v_div_fixup_f32 v0, v0, v8, v7
.LBB4_21:
	s_lshl_b32 s0, s6, 9
	s_ashr_i32 s1, s0, 31
	s_lshl_b64 s[0:1], s[0:1], 2
	s_add_u32 s0, s10, s0
	s_addc_u32 s1, s11, s1
	global_store_dword v5, v0, s[0:1]
	s_endpgm
	.section	.rodata,"a",@progbits
	.p2align	6, 0x0
	.amdhsa_kernel _ZL26flash_attn_combine_resultsILi512EEvPKfPK15HIP_vector_typeIfLj2EEPfi
		.amdhsa_group_segment_fixed_size 0
		.amdhsa_private_segment_fixed_size 0
		.amdhsa_kernarg_size 288
		.amdhsa_user_sgpr_count 6
		.amdhsa_user_sgpr_private_segment_buffer 1
		.amdhsa_user_sgpr_dispatch_ptr 0
		.amdhsa_user_sgpr_queue_ptr 0
		.amdhsa_user_sgpr_kernarg_segment_ptr 1
		.amdhsa_user_sgpr_dispatch_id 0
		.amdhsa_user_sgpr_flat_scratch_init 0
		.amdhsa_user_sgpr_private_segment_size 0
		.amdhsa_wavefront_size32 1
		.amdhsa_uses_dynamic_stack 0
		.amdhsa_system_sgpr_private_segment_wavefront_offset 0
		.amdhsa_system_sgpr_workgroup_id_x 1
		.amdhsa_system_sgpr_workgroup_id_y 1
		.amdhsa_system_sgpr_workgroup_id_z 1
		.amdhsa_system_sgpr_workgroup_info 0
		.amdhsa_system_vgpr_workitem_id 0
		.amdhsa_next_free_vgpr 52
		.amdhsa_next_free_sgpr 18
		.amdhsa_reserve_vcc 1
		.amdhsa_reserve_flat_scratch 0
		.amdhsa_float_round_mode_32 0
		.amdhsa_float_round_mode_16_64 0
		.amdhsa_float_denorm_mode_32 3
		.amdhsa_float_denorm_mode_16_64 3
		.amdhsa_dx10_clamp 1
		.amdhsa_ieee_mode 1
		.amdhsa_fp16_overflow 0
		.amdhsa_workgroup_processor_mode 1
		.amdhsa_memory_ordered 1
		.amdhsa_forward_progress 1
		.amdhsa_shared_vgpr_count 0
		.amdhsa_exception_fp_ieee_invalid_op 0
		.amdhsa_exception_fp_denorm_src 0
		.amdhsa_exception_fp_ieee_div_zero 0
		.amdhsa_exception_fp_ieee_overflow 0
		.amdhsa_exception_fp_ieee_underflow 0
		.amdhsa_exception_fp_ieee_inexact 0
		.amdhsa_exception_int_div_zero 0
	.end_amdhsa_kernel
	.section	.text._ZL26flash_attn_combine_resultsILi512EEvPKfPK15HIP_vector_typeIfLj2EEPfi,"axG",@progbits,_ZL26flash_attn_combine_resultsILi512EEvPKfPK15HIP_vector_typeIfLj2EEPfi,comdat
.Lfunc_end4:
	.size	_ZL26flash_attn_combine_resultsILi512EEvPKfPK15HIP_vector_typeIfLj2EEPfi, .Lfunc_end4-_ZL26flash_attn_combine_resultsILi512EEvPKfPK15HIP_vector_typeIfLj2EEPfi
                                        ; -- End function
	.set _ZL26flash_attn_combine_resultsILi512EEvPKfPK15HIP_vector_typeIfLj2EEPfi.num_vgpr, 52
	.set _ZL26flash_attn_combine_resultsILi512EEvPKfPK15HIP_vector_typeIfLj2EEPfi.num_agpr, 0
	.set _ZL26flash_attn_combine_resultsILi512EEvPKfPK15HIP_vector_typeIfLj2EEPfi.numbered_sgpr, 18
	.set _ZL26flash_attn_combine_resultsILi512EEvPKfPK15HIP_vector_typeIfLj2EEPfi.num_named_barrier, 0
	.set _ZL26flash_attn_combine_resultsILi512EEvPKfPK15HIP_vector_typeIfLj2EEPfi.private_seg_size, 0
	.set _ZL26flash_attn_combine_resultsILi512EEvPKfPK15HIP_vector_typeIfLj2EEPfi.uses_vcc, 1
	.set _ZL26flash_attn_combine_resultsILi512EEvPKfPK15HIP_vector_typeIfLj2EEPfi.uses_flat_scratch, 0
	.set _ZL26flash_attn_combine_resultsILi512EEvPKfPK15HIP_vector_typeIfLj2EEPfi.has_dyn_sized_stack, 0
	.set _ZL26flash_attn_combine_resultsILi512EEvPKfPK15HIP_vector_typeIfLj2EEPfi.has_recursion, 0
	.set _ZL26flash_attn_combine_resultsILi512EEvPKfPK15HIP_vector_typeIfLj2EEPfi.has_indirect_call, 0
	.section	.AMDGPU.csdata,"",@progbits
; Kernel info:
; codeLenInByte = 2264
; TotalNumSgprs: 20
; NumVgprs: 52
; ScratchSize: 0
; MemoryBound: 0
; FloatMode: 240
; IeeeMode: 1
; LDSByteSize: 0 bytes/workgroup (compile time only)
; SGPRBlocks: 0
; VGPRBlocks: 6
; NumSGPRsForWavesPerEU: 20
; NumVGPRsForWavesPerEU: 52
; Occupancy: 16
; WaveLimiterHint : 0
; COMPUTE_PGM_RSRC2:SCRATCH_EN: 0
; COMPUTE_PGM_RSRC2:USER_SGPR: 6
; COMPUTE_PGM_RSRC2:TRAP_HANDLER: 0
; COMPUTE_PGM_RSRC2:TGID_X_EN: 1
; COMPUTE_PGM_RSRC2:TGID_Y_EN: 1
; COMPUTE_PGM_RSRC2:TGID_Z_EN: 1
; COMPUTE_PGM_RSRC2:TIDIG_COMP_CNT: 0
	.section	.text._ZL15flash_attn_tileILi576ELi512ELi1ELi16ELb0EEvPKcS1_S1_S1_S1_PKiPfP15HIP_vector_typeIfLj2EEffffjfiS5_IjLj3EEiiiiiiiiiiiliiliiiiil,"axG",@progbits,_ZL15flash_attn_tileILi576ELi512ELi1ELi16ELb0EEvPKcS1_S1_S1_S1_PKiPfP15HIP_vector_typeIfLj2EEffffjfiS5_IjLj3EEiiiiiiiiiiiliiliiiiil,comdat
	.globl	_ZL15flash_attn_tileILi576ELi512ELi1ELi16ELb0EEvPKcS1_S1_S1_S1_PKiPfP15HIP_vector_typeIfLj2EEffffjfiS5_IjLj3EEiiiiiiiiiiiliiliiiiil ; -- Begin function _ZL15flash_attn_tileILi576ELi512ELi1ELi16ELb0EEvPKcS1_S1_S1_S1_PKiPfP15HIP_vector_typeIfLj2EEffffjfiS5_IjLj3EEiiiiiiiiiiiliiliiiiil
	.p2align	8
	.type	_ZL15flash_attn_tileILi576ELi512ELi1ELi16ELb0EEvPKcS1_S1_S1_S1_PKiPfP15HIP_vector_typeIfLj2EEffffjfiS5_IjLj3EEiiiiiiiiiiiliiliiiiil,@function
_ZL15flash_attn_tileILi576ELi512ELi1ELi16ELb0EEvPKcS1_S1_S1_S1_PKiPfP15HIP_vector_typeIfLj2EEffffjfiS5_IjLj3EEiiiiiiiiiiiliiliiiiil: ; @_ZL15flash_attn_tileILi576ELi512ELi1ELi16ELb0EEvPKcS1_S1_S1_S1_PKiPfP15HIP_vector_typeIfLj2EEffffjfiS5_IjLj3EEiiiiiiiiiiiliiliiiiil
; %bb.0:
	s_clause 0x1
	s_load_dwordx4 s[24:27], s[4:5], 0x5c
	s_load_dwordx2 s[30:31], s[4:5], 0x80
	s_mov_b32 s28, s7
	s_mov_b64 s[34:35], 0
	s_waitcnt lgkmcnt(0)
	s_ashr_i32 s0, s27, 31
	s_lshr_b32 s0, s0, 28
	s_add_i32 s0, s27, s0
	s_ashr_i32 s0, s0, 4
	v_cvt_f32_u32_e32 v2, s0
	s_sub_i32 s2, 0, s0
	v_rcp_iflag_f32_e32 v2, v2
	v_mul_f32_e32 v2, 0x4f7ffffe, v2
	v_cvt_u32_f32_e32 v2, v2
	v_readfirstlane_b32 s1, v2
	s_mul_i32 s2, s2, s1
	s_mul_hi_u32 s2, s1, s2
	s_add_i32 s1, s1, s2
	s_mul_hi_u32 s1, s8, s1
	s_mul_i32 s2, s1, s0
	s_add_i32 s3, s1, 1
	s_sub_i32 s2, s8, s2
	s_sub_i32 s7, s2, s0
	s_cmp_ge_u32 s2, s0
	s_cselect_b32 s1, s3, s1
	s_cselect_b32 s2, s7, s2
	s_add_i32 s3, s1, 1
	s_cmp_ge_u32 s2, s0
	s_cselect_b32 s29, s3, s1
	s_abs_i32 s0, s31
	s_lshl_b32 s3, s8, 4
	v_cvt_f32_u32_e32 v2, s0
	s_sub_i32 s2, 0, s0
	s_abs_i32 s8, s27
	s_mul_i32 s7, s29, s27
	v_rcp_iflag_f32_e32 v2, v2
	s_sub_i32 s33, s3, s7
	v_mul_f32_e32 v2, 0x4f7ffffe, v2
	v_cvt_u32_f32_e32 v2, v2
	v_readfirstlane_b32 s1, v2
	s_mul_i32 s2, s2, s1
	s_mul_hi_u32 s2, s1, s2
	s_add_i32 s1, s1, s2
	s_xor_b32 s2, s27, s31
	s_mul_hi_u32 s1, s8, s1
	s_ashr_i32 s2, s2, 31
	s_mul_i32 s3, s1, s0
	s_add_i32 s7, s1, 1
	s_sub_i32 s3, s8, s3
	s_sub_i32 s8, s3, s0
	s_cmp_ge_u32 s3, s0
	s_cselect_b32 s1, s7, s1
	s_cselect_b32 s3, s8, s3
	s_add_i32 s7, s1, 1
	s_cmp_ge_u32 s3, s0
	s_clause 0x1
	s_load_dwordx16 s[8:23], s[4:5], 0x0
	s_load_dwordx2 s[36:37], s[4:5], 0xb8
	s_cselect_b32 s0, s7, s1
	s_xor_b32 s0, s0, s2
	s_sub_i32 s31, s0, s2
	s_abs_i32 s7, s31
	v_cvt_f32_u32_e32 v2, s7
	v_rcp_iflag_f32_e32 v2, v2
	s_waitcnt lgkmcnt(0)
	s_cmp_eq_u64 s[14:15], 0
	v_mul_f32_e32 v2, 0x4f7ffffe, v2
	v_cvt_u32_f32_e32 v2, v2
	v_readfirstlane_b32 s38, v2
	s_cbranch_scc1 .LBB5_2
; %bb.1:
	s_abs_i32 s2, s36
	s_abs_i32 s3, s29
	v_cvt_f32_u32_e32 v2, s2
	s_sub_i32 s1, 0, s2
	v_rcp_iflag_f32_e32 v2, v2
	v_mul_f32_e32 v2, 0x4f7ffffe, v2
	v_cvt_u32_f32_e32 v2, v2
	v_readfirstlane_b32 s0, v2
	s_mul_i32 s1, s1, s0
	s_mul_hi_u32 s1, s0, s1
	s_add_i32 s0, s0, s1
	s_mul_hi_u32 s34, s3, s0
	s_load_dwordx2 s[0:1], s[4:5], 0xc8
	s_mul_i32 s34, s34, s2
	s_sub_i32 s3, s3, s34
	s_ashr_i32 s34, s29, 31
	s_sub_i32 s35, s3, s2
	s_cmp_ge_u32 s3, s2
	s_cselect_b32 s3, s35, s3
	s_sub_i32 s35, s3, s2
	s_cmp_ge_u32 s3, s2
	s_cselect_b32 s2, s35, s3
	s_xor_b32 s2, s2, s34
	s_sub_i32 s2, s2, s34
	s_ashr_i32 s3, s2, 31
	s_waitcnt lgkmcnt(0)
	s_mul_hi_u32 s34, s0, s2
	s_mul_i32 s3, s0, s3
	s_mul_i32 s1, s1, s2
	s_add_i32 s3, s34, s3
	s_mul_i32 s0, s0, s2
	s_add_i32 s3, s3, s1
	s_add_u32 s34, s14, s0
	s_addc_u32 s35, s15, s3
.LBB5_2:
	v_lshrrev_b32_e32 v2, 3, v1
	s_load_dwordx4 s[0:3], s[4:5], 0x70
	v_lshlrev_b32_e32 v7, 1, v1
	v_mul_u32_u24_e32 v31, 0x900, v1
	v_add_nc_u32_e32 v2, s6, v2
	v_and_b32_e32 v30, 14, v7
	v_mul_hi_u32 v3, s24, v2
	v_add_nc_u32_e32 v3, v2, v3
	s_waitcnt lgkmcnt(0)
	s_mul_i32 s2, s29, s2
	s_mul_i32 s3, s33, s1
	v_lshrrev_b32_e32 v3, s25, v3
	s_ashr_i32 s15, s2, 31
	s_add_u32 s2, s8, s2
	s_addc_u32 s8, s9, s15
	s_ashr_i32 s9, s3, 31
	v_mul_lo_u32 v3, v3, s26
	s_add_u32 s24, s2, s3
	s_mov_b32 s14, s1
	s_addc_u32 s8, s8, s9
	s_ashr_i32 s15, s1, 31
	s_ashr_i32 s1, s0, 31
	s_lshr_b64 s[2:3], s[0:1], 2
	v_sub_nc_u32_e32 v5, v2, v3
	s_lshr_b32 s0, s1, 2
	s_load_dword s1, s[4:5], 0x40
	v_mad_u64_u32 v[3:4], null, s2, v5, 0
	s_lshr_b64 s[2:3], s[14:15], 2
	v_mad_u64_u32 v[8:9], null, s2, v30, 0
	v_mad_u64_u32 v[10:11], null, s0, v5, v[4:5]
	s_lshr_b32 s0, s15, 2
	v_mov_b32_e32 v6, v9
	v_mov_b32_e32 v4, v10
	v_mad_u64_u32 v[9:10], null, s0, v30, v[6:7]
	v_lshlrev_b32_e32 v6, 4, v0
	v_lshlrev_b64 v[3:4], 2, v[3:4]
	v_add_co_u32 v10, vcc_lo, s24, v3
	v_add_co_ci_u32_e64 v11, null, s8, v4, vcc_lo
	v_lshlrev_b64 v[3:4], 2, v[8:9]
	v_add_co_u32 v8, vcc_lo, v10, v6
	v_add_co_ci_u32_e64 v9, null, 0, v11, vcc_lo
	v_lshlrev_b32_e32 v6, 3, v0
	v_add_co_u32 v3, vcc_lo, v8, v3
	v_add_co_ci_u32_e64 v4, null, v9, v4, vcc_lo
	v_mad_u32_u24 v26, 0x900, v1, v6
	v_cmp_gt_u32_e32 vcc_lo, 16, v0
	s_clause 0x3
	global_load_dwordx4 v[10:13], v[3:4], off
	global_load_dwordx4 v[14:17], v[3:4], off offset:512
	global_load_dwordx4 v[18:21], v[3:4], off offset:1024
	;; [unrolled: 1-line block ×3, first 2 shown]
	s_waitcnt vmcnt(3) lgkmcnt(0)
	v_fma_mixlo_f16 v10, s1, v10, 0
	v_fma_mixlo_f16 v11, s1, v11, 0
	;; [unrolled: 1-line block ×4, first 2 shown]
	s_waitcnt vmcnt(2)
	v_fma_mixlo_f16 v14, s1, v14, 0
	v_fma_mixlo_f16 v15, s1, v15, 0
	;; [unrolled: 1-line block ×4, first 2 shown]
	s_waitcnt vmcnt(1)
	v_fma_mixlo_f16 v18, s1, v18, 0
	v_fma_mixlo_f16 v19, s1, v19, 0
	s_waitcnt vmcnt(0)
	v_fma_mixlo_f16 v22, s1, v22, 0
	v_fma_mixlo_f16 v23, s1, v23, 0
	v_lshlrev_b32_e32 v11, 16, v11
	v_and_b32_e32 v10, 0xffff, v10
	v_lshlrev_b32_e32 v13, 16, v13
	v_and_b32_e32 v12, 0xffff, v12
	;; [unrolled: 2-line block ×3, first 2 shown]
	v_fma_mixlo_f16 v20, s1, v20, 0
	v_fma_mixlo_f16 v21, s1, v21, 0
	v_fma_mixlo_f16 v24, s1, v24, 0
	v_fma_mixlo_f16 v25, s1, v25, 0
	v_lshlrev_b32_e32 v17, 16, v17
	v_and_b32_e32 v16, 0xffff, v16
	v_lshlrev_b32_e32 v19, 16, v19
	v_and_b32_e32 v18, 0xffff, v18
	;; [unrolled: 2-line block ×3, first 2 shown]
	v_or_b32_e32 v10, v11, v10
	v_or3_b32 v11, v13, v12, 0
	v_or_b32_e32 v12, v15, v14
	v_lshlrev_b32_e32 v21, 16, v21
	v_and_b32_e32 v20, 0xffff, v20
	v_lshlrev_b32_e32 v25, 16, v25
	v_and_b32_e32 v24, 0xffff, v24
	v_or3_b32 v13, v17, v16, 0
	v_or_b32_e32 v14, v19, v18
	v_or_b32_e32 v16, v23, v22
	v_or3_b32 v10, 0, 0, v10
	v_or3_b32 v12, 0, 0, v12
	;; [unrolled: 1-line block ×6, first 2 shown]
	ds_write2_b64 v26, v[10:11], v[12:13] offset1:32
	ds_write2_b64 v26, v[14:15], v[16:17] offset0:64 offset1:96
	s_and_saveexec_b32 s8, vcc_lo
	s_cbranch_execz .LBB5_4
; %bb.3:
	v_add_co_u32 v3, s0, 0x800, v3
	v_add_co_ci_u32_e64 v4, null, 0, v4, s0
	global_load_dwordx4 v[10:13], v[3:4], off
	s_waitcnt vmcnt(0)
	v_fma_mixlo_f16 v3, s1, v11, 0
	v_fma_mixlo_f16 v4, s1, v10, 0
	;; [unrolled: 1-line block ×4, first 2 shown]
	v_lshlrev_b32_e32 v3, 16, v3
	v_and_b32_e32 v4, 0xffff, v4
	v_and_b32_e32 v10, 0xffff, v10
	v_lshlrev_b32_e32 v11, 16, v11
	v_or_b32_e32 v3, v3, v4
	v_or3_b32 v4, v11, v10, 0
	v_add_nc_u32_e32 v10, v6, v31
	v_or3_b32 v3, 0, 0, v3
	ds_write_b64 v10, v[3:4] offset:1024
.LBB5_4:
	s_or_b32 exec_lo, exec_lo, s8
	v_or_b32_e32 v7, 1, v7
	v_and_b32_e32 v10, 15, v7
	v_mad_u32_u24 v24, 0x480, v7, v6
	v_mad_u64_u32 v[3:4], null, s2, v10, 0
	v_mad_u64_u32 v[10:11], null, s3, v10, v[4:5]
	v_mov_b32_e32 v4, v10
	v_lshlrev_b64 v[3:4], 2, v[3:4]
	v_add_co_u32 v3, s0, v8, v3
	v_add_co_ci_u32_e64 v4, null, v9, v4, s0
	s_clause 0x3
	global_load_dwordx4 v[8:11], v[3:4], off
	global_load_dwordx4 v[12:15], v[3:4], off offset:512
	global_load_dwordx4 v[16:19], v[3:4], off offset:1024
	global_load_dwordx4 v[20:23], v[3:4], off offset:1536
	s_waitcnt vmcnt(3)
	v_fma_mixlo_f16 v8, s1, v8, 0
	v_fma_mixlo_f16 v9, s1, v9, 0
	;; [unrolled: 1-line block ×4, first 2 shown]
	s_waitcnt vmcnt(2)
	v_fma_mixlo_f16 v12, s1, v12, 0
	v_fma_mixlo_f16 v13, s1, v13, 0
	;; [unrolled: 1-line block ×4, first 2 shown]
	s_waitcnt vmcnt(1)
	v_fma_mixlo_f16 v16, s1, v16, 0
	v_fma_mixlo_f16 v17, s1, v17, 0
	s_waitcnt vmcnt(0)
	v_fma_mixlo_f16 v20, s1, v20, 0
	v_fma_mixlo_f16 v21, s1, v21, 0
	v_lshlrev_b32_e32 v9, 16, v9
	v_and_b32_e32 v8, 0xffff, v8
	v_lshlrev_b32_e32 v11, 16, v11
	v_and_b32_e32 v10, 0xffff, v10
	;; [unrolled: 2-line block ×3, first 2 shown]
	v_fma_mixlo_f16 v18, s1, v18, 0
	v_fma_mixlo_f16 v19, s1, v19, 0
	v_fma_mixlo_f16 v22, s1, v22, 0
	v_fma_mixlo_f16 v23, s1, v23, 0
	v_lshlrev_b32_e32 v15, 16, v15
	v_and_b32_e32 v14, 0xffff, v14
	v_lshlrev_b32_e32 v17, 16, v17
	v_and_b32_e32 v16, 0xffff, v16
	;; [unrolled: 2-line block ×3, first 2 shown]
	v_or_b32_e32 v8, v9, v8
	v_or3_b32 v9, v11, v10, 0
	v_or_b32_e32 v10, v13, v12
	v_lshlrev_b32_e32 v19, 16, v19
	v_and_b32_e32 v18, 0xffff, v18
	v_lshlrev_b32_e32 v23, 16, v23
	v_and_b32_e32 v22, 0xffff, v22
	v_or3_b32 v11, v15, v14, 0
	v_or_b32_e32 v12, v17, v16
	v_or_b32_e32 v14, v21, v20
	v_or3_b32 v8, 0, 0, v8
	v_or3_b32 v10, 0, 0, v10
	;; [unrolled: 1-line block ×6, first 2 shown]
	ds_write2_b64 v24, v[8:9], v[10:11] offset1:32
	ds_write2_b64 v24, v[12:13], v[14:15] offset0:64 offset1:96
	s_and_saveexec_b32 s0, vcc_lo
	s_cbranch_execz .LBB5_6
; %bb.5:
	v_add_co_u32 v3, vcc_lo, 0x800, v3
	v_add_co_ci_u32_e64 v4, null, 0, v4, vcc_lo
	v_mul_u32_u24_e32 v7, 0x480, v7
	global_load_dwordx4 v[8:11], v[3:4], off
	v_add_nc_u32_e32 v7, v6, v7
	s_waitcnt vmcnt(0)
	v_fma_mixlo_f16 v3, s1, v9, 0
	v_fma_mixlo_f16 v4, s1, v8, 0
	;; [unrolled: 1-line block ×4, first 2 shown]
	v_lshlrev_b32_e32 v3, 16, v3
	v_and_b32_e32 v4, 0xffff, v4
	v_and_b32_e32 v8, 0xffff, v8
	v_lshlrev_b32_e32 v9, 16, v9
	v_or_b32_e32 v3, v3, v4
	v_or3_b32 v4, v9, v8, 0
	v_or3_b32 v3, 0, 0, v3
	ds_write_b64 v7, v[3:4] offset:1024
.LBB5_6:
	s_or_b32 exec_lo, exec_lo, s0
	s_cmp_eq_u64 s[18:19], 0
	s_waitcnt lgkmcnt(0)
	s_barrier
	buffer_gl0_inv
	s_cbranch_scc1 .LBB5_8
; %bb.7:
	s_load_dword s0, s[4:5], 0xd0
	s_mov_b32 s1, 0
	s_waitcnt lgkmcnt(0)
	s_mul_i32 s0, s0, s29
	s_add_i32 s0, s0, s6
	s_lshl_b64 s[0:1], s[0:1], 2
	s_add_u32 s0, s18, s0
	s_addc_u32 s1, s19, s1
	s_load_dword s30, s[0:1], 0x0
.LBB5_8:
	v_lshlrev_b32_e32 v29, 2, v0
	v_mbcnt_lo_u32_b32 v32, -1, 0
	s_lshl_b32 s24, s28, 6
	s_waitcnt lgkmcnt(0)
	s_cmp_lt_i32 s24, s30
	s_cbranch_scc1 .LBB5_11
; %bb.9:
	v_mbcnt_lo_u32_b32 v4, -1, 0
	v_mov_b32_e32 v3, 32
	v_xor_b32_e32 v37, 16, v4
	v_xor_b32_e32 v36, 8, v4
	;; [unrolled: 1-line block ×5, first 2 shown]
	s_cbranch_execz .LBB5_12
; %bb.10:
	v_mov_b32_e32 v62, 0
	v_mov_b32_e32 v10, 0
	;; [unrolled: 1-line block ×20, first 2 shown]
	s_branch .LBB5_15
.LBB5_11:
                                        ; implicit-def: $vgpr4
                                        ; implicit-def: $vgpr3
                                        ; implicit-def: $vgpr37
                                        ; implicit-def: $vgpr36
                                        ; implicit-def: $vgpr35
                                        ; implicit-def: $vgpr34
                                        ; implicit-def: $vgpr33
.LBB5_12:
	s_clause 0x1
	s_load_dwordx4 s[0:3], s[4:5], 0x98
	s_load_dwordx2 s[8:9], s[4:5], 0x8c
	s_sub_i32 s6, 0, s7
	s_abs_i32 s18, s33
	s_mul_i32 s6, s6, s38
	s_ashr_i32 s36, s31, 31
	s_mul_hi_u32 s6, s38, s6
	s_ashr_i32 s19, s33, 31
	s_add_i32 s38, s38, s6
	s_ashr_i32 s6, s37, 1
	s_mul_hi_u32 s37, s18, s38
	s_ashr_i32 s38, s29, 31
	s_load_dwordx2 s[14:15], s[4:5], 0xa8
	s_mul_i32 s39, s37, s7
	v_lshrrev_b32_e32 v3, 3, v0
	v_and_b32_e32 v14, 28, v29
	v_lshlrev_b32_e32 v13, 2, v29
	v_or_b32_e32 v43, 0x4800, v6
	v_mov_b32_e32 v52, 0
	v_lshl_add_u32 v3, v1, 2, v3
	s_waitcnt lgkmcnt(0)
	s_ashr_i32 s25, s2, 2
	s_ashr_i32 s31, s8, 2
	s_mul_hi_u32 s2, s0, s29
	s_mul_i32 s8, s0, s38
	s_mul_i32 s1, s1, s29
	s_add_i32 s2, s2, s8
	s_mul_i32 s0, s0, s29
	s_add_i32 s2, s2, s1
	s_add_u32 s0, s10, s0
	s_addc_u32 s1, s11, s2
	s_sub_i32 s8, s18, s39
	s_xor_b32 s2, s19, s36
	s_add_i32 s10, s37, 1
	s_sub_i32 s11, s8, s7
	s_cmp_ge_u32 s8, s7
	v_lshlrev_b32_e32 v4, 2, v14
	s_cselect_b32 s10, s10, s37
	s_cselect_b32 s8, s11, s8
	s_add_i32 s11, s10, 1
	s_cmp_ge_u32 s8, s7
	v_mul_lo_u32 v7, s31, v3
	v_mad_u32_u24 v10, 0x90, v3, v4
	v_mul_lo_u32 v3, s25, v1
	s_cselect_b32 s7, s11, s10
	s_mul_hi_u32 s8, s14, s29
	s_xor_b32 s7, s7, s2
	s_mul_i32 s10, s15, s29
	s_sub_i32 s2, s7, s2
	s_mul_i32 s7, s14, s38
	s_mul_i32 s9, s2, s9
	v_ashrrev_i32_e32 v4, 31, v3
	s_ashr_i32 s11, s9, 31
	s_add_u32 s36, s0, s9
	s_addc_u32 s37, s1, s11
	s_add_i32 s0, s8, s7
	s_mul_i32 s1, s14, s29
	v_lshlrev_b64 v[11:12], 2, v[3:4]
	s_add_i32 s0, s0, s10
	s_mul_i32 s2, s2, s3
	s_add_u32 s1, s12, s1
	s_addc_u32 s0, s13, s0
	s_ashr_i32 s3, s2, 31
	v_lshl_add_u32 v9, s31, 5, v7
	s_add_u32 s1, s1, s2
	v_mad_u64_u32 v[3:4], null, v5, s6, v[0:1]
	s_addc_u32 s0, s0, s3
	v_add_co_u32 v4, vcc_lo, s1, v11
	v_add_nc_u32_e32 v38, 0x4800, v10
	v_ashrrev_i32_e32 v8, 31, v7
	v_add_nc_u32_e32 v39, 0x5a00, v10
	v_ashrrev_i32_e32 v10, 31, v9
	v_add_co_ci_u32_e64 v5, null, s0, v12, vcc_lo
	v_lshl_add_u32 v15, v1, 10, v13
	v_lshl_add_u32 v1, v1, 8, 0x6c00
	v_add_co_u32 v44, vcc_lo, v4, v13
	s_movk_i32 s2, 0x4800
	v_add_co_ci_u32_e64 v45, null, 0, v5, vcc_lo
	v_lshlrev_b64 v[4:5], 2, v[7:8]
	v_lshlrev_b64 v[6:7], 2, v[9:10]
	v_mad_u32_u24 v40, 0x90, v0, s2
	v_add_nc_u32_e32 v41, 0x4800, v15
	v_add_nc_u32_e32 v42, 0x4a00, v15
	v_mov_b32_e32 v13, 0xfeffffff
	v_lshlrev_b32_e32 v46, 2, v14
	v_xor_b32_e32 v37, 16, v32
	v_xor_b32_e32 v36, 8, v32
	;; [unrolled: 1-line block ×5, first 2 shown]
	v_add_nc_u32_e32 v47, v1, v29
	v_mov_b32_e32 v48, 0x10001
	v_add_nc_u32_e32 v49, 0x800, v43
	v_add_nc_u32_e32 v50, 0x1000, v43
	;; [unrolled: 1-line block ×3, first 2 shown]
	v_mov_b32_e32 v53, 0
	v_mov_b32_e32 v56, 0
	;; [unrolled: 1-line block ×18, first 2 shown]
	s_add_u32 s14, s4, 0xd0
	s_addc_u32 s15, s5, 0
.LBB5_13:                               ; =>This Inner Loop Header: Depth=1
	s_mul_hi_i32 s7, s24, s31
	s_mul_i32 s6, s24, s31
	v_cmp_gt_i32_e64 s0, 32, v36
	v_cmp_gt_i32_e32 vcc_lo, 32, v37
	v_cmp_gt_i32_e64 s2, 32, v34
	v_cmp_gt_i32_e64 s3, 32, v33
	s_lshl_b64 s[6:7], s[6:7], 2
	s_mul_hi_i32 s9, s24, s25
	s_add_u32 s6, s36, s6
	s_mul_i32 s8, s24, s25
	v_cndmask_b32_e64 v11, v32, v36, s0
	s_addc_u32 s42, s37, s7
	v_add_co_u32 v18, s0, s6, v4
	v_mov_b32_e32 v75, v10
	v_cndmask_b32_e32 v10, v32, v37, vcc_lo
	v_cndmask_b32_e64 v15, v32, v34, s2
	v_cndmask_b32_e64 v16, v32, v33, s3
	s_lshl_b64 s[2:3], s[8:9], 2
	s_or_b32 s8, s24, 8
	s_or_b32 s10, s24, 16
	v_add_co_u32 v17, vcc_lo, s6, v6
	v_add_co_ci_u32_e64 v26, null, s42, v5, s0
	s_mul_hi_i32 s7, s8, s25
	s_mul_i32 s6, s8, s25
	s_mul_hi_i32 s9, s10, s25
	s_mul_i32 s8, s10, s25
	v_add_co_ci_u32_e64 v81, null, s42, v7, vcc_lo
	s_lshl_b64 s[44:45], s[8:9], 2
	v_add_co_u32 v27, s9, v18, v46
	v_add_co_u32 v25, s0, v17, v46
	v_add_co_ci_u32_e64 v28, null, 0, v26, s9
	v_add_co_ci_u32_e64 v26, null, 0, v81, s0
	s_clause 0x1
	global_load_dwordx4 v[81:84], v[27:28], off
	global_load_dwordx4 v[85:88], v[25:26], off
	v_mov_b32_e32 v71, 0
	v_mov_b32_e32 v72, 0
	;; [unrolled: 1-line block ×4, first 2 shown]
	v_add_nc_u32_e32 v8, s24, v3
	v_mov_b32_e32 v68, v23
	v_cmp_gt_i32_e64 s1, 32, v35
	v_mov_b32_e32 v70, v13
	v_mov_b32_e32 v69, v14
	v_ashrrev_i32_e32 v9, 31, v8
	v_lshlrev_b32_e32 v80, 2, v10
	v_cndmask_b32_e64 v12, v32, v35, s1
	v_add_co_u32 v13, s1, v44, s2
	v_lshlrev_b64 v[23:24], 1, v[8:9]
	v_add_co_ci_u32_e64 v14, null, s3, v45, s1
	v_lshlrev_b32_e32 v79, 2, v11
	v_lshlrev_b32_e32 v78, 2, v12
	;; [unrolled: 1-line block ×3, first 2 shown]
	v_add_co_u32 v23, s0, s34, v23
	v_add_co_ci_u32_e64 v24, null, s35, v24, s0
	v_lshlrev_b32_e32 v76, 2, v16
	s_or_b32 s12, s24, 24
	s_or_b32 s18, s24, 32
	;; [unrolled: 1-line block ×5, first 2 shown]
	s_mul_hi_i32 s11, s12, s25
	s_mul_i32 s10, s12, s25
	s_mul_hi_i32 s13, s18, s25
	s_mul_i32 s12, s18, s25
	;; [unrolled: 2-line block ×5, first 2 shown]
	s_lshl_b64 s[42:43], s[6:7], 2
	s_lshl_b64 s[10:11], s[10:11], 2
	;; [unrolled: 1-line block ×5, first 2 shown]
	v_add_co_u32 v21, s1, v44, s42
	v_add_co_u32 v19, s2, v44, s44
	;; [unrolled: 1-line block ×6, first 2 shown]
	v_add_co_ci_u32_e64 v22, null, s43, v45, s1
	v_add_co_ci_u32_e64 v20, null, s45, v45, s2
	;; [unrolled: 1-line block ×6, first 2 shown]
	s_lshl_b64 s[18:19], s[40:41], 2
	s_waitcnt vmcnt(1)
	ds_write_b128 v38, v[81:84]
	s_waitcnt vmcnt(0)
	ds_write_b128 v39, v[85:88]
	s_waitcnt lgkmcnt(0)
	s_barrier
	buffer_gl0_inv
	ds_read_b128 v[81:84], v40
	ds_read_b128 v[85:88], v31
	ds_read_b128 v[89:92], v31 offset:1152
	ds_read_b128 v[93:96], v40 offset:4608
	s_waitcnt lgkmcnt(2)
	;;#ASMSTART
	v_dot2_f32_f16 v71, v81, v85, v71
	;;#ASMEND
	;;#ASMSTART
	v_dot2_f32_f16 v71, v82, v86, v71
	;;#ASMEND
	;;#ASMSTART
	v_dot2_f32_f16 v71, v83, v87, v71
	;;#ASMEND
	;;#ASMSTART
	v_dot2_f32_f16 v71, v84, v88, v71
	;;#ASMEND
	s_waitcnt lgkmcnt(1)
	;;#ASMSTART
	v_dot2_f32_f16 v72, v81, v89, v72
	;;#ASMEND
	;;#ASMSTART
	v_dot2_f32_f16 v72, v82, v90, v72
	;;#ASMEND
	;;#ASMSTART
	v_dot2_f32_f16 v72, v83, v91, v72
	;;#ASMEND
	;;#ASMSTART
	v_dot2_f32_f16 v72, v84, v92, v72
	;;#ASMEND
	s_waitcnt lgkmcnt(0)
	;;#ASMSTART
	v_dot2_f32_f16 v73, v93, v85, v73
	;;#ASMEND
	;;#ASMSTART
	v_dot2_f32_f16 v73, v94, v86, v73
	;;#ASMEND
	;;#ASMSTART
	v_dot2_f32_f16 v73, v95, v87, v73
	;;#ASMEND
	;;#ASMSTART
	v_dot2_f32_f16 v73, v96, v88, v73
	;;#ASMEND
	;;#ASMSTART
	v_dot2_f32_f16 v74, v93, v89, v74
	;;#ASMEND
	;;#ASMSTART
	v_dot2_f32_f16 v74, v94, v90, v74
	;;#ASMEND
	;;#ASMSTART
	v_dot2_f32_f16 v74, v95, v91, v74
	;;#ASMEND
	;;#ASMSTART
	v_dot2_f32_f16 v74, v96, v92, v74
	;;#ASMEND
	ds_read_b128 v[81:84], v40 offset:16
	ds_read_b128 v[85:88], v31 offset:16
	ds_read_b128 v[89:92], v31 offset:1168
	ds_read_b128 v[93:96], v40 offset:4624
	s_waitcnt lgkmcnt(2)
	;;#ASMSTART
	v_dot2_f32_f16 v71, v81, v85, v71
	;;#ASMEND
	;;#ASMSTART
	v_dot2_f32_f16 v71, v82, v86, v71
	;;#ASMEND
	;;#ASMSTART
	v_dot2_f32_f16 v71, v83, v87, v71
	;;#ASMEND
	;;#ASMSTART
	v_dot2_f32_f16 v71, v84, v88, v71
	;;#ASMEND
	s_waitcnt lgkmcnt(1)
	;;#ASMSTART
	v_dot2_f32_f16 v72, v81, v89, v72
	;;#ASMEND
	;;#ASMSTART
	v_dot2_f32_f16 v72, v82, v90, v72
	;;#ASMEND
	;;#ASMSTART
	v_dot2_f32_f16 v72, v83, v91, v72
	;;#ASMEND
	;;#ASMSTART
	v_dot2_f32_f16 v72, v84, v92, v72
	;;#ASMEND
	s_waitcnt lgkmcnt(0)
	;;#ASMSTART
	v_dot2_f32_f16 v73, v93, v85, v73
	;;#ASMEND
	;;#ASMSTART
	v_dot2_f32_f16 v73, v94, v86, v73
	;;#ASMEND
	;;#ASMSTART
	v_dot2_f32_f16 v73, v95, v87, v73
	;;#ASMEND
	;;#ASMSTART
	v_dot2_f32_f16 v73, v96, v88, v73
	;;#ASMEND
	;;#ASMSTART
	v_dot2_f32_f16 v74, v93, v89, v74
	;;#ASMEND
	;;#ASMSTART
	v_dot2_f32_f16 v74, v94, v90, v74
	;;#ASMEND
	;;#ASMSTART
	v_dot2_f32_f16 v74, v95, v91, v74
	;;#ASMEND
	;;#ASMSTART
	v_dot2_f32_f16 v74, v96, v92, v74
	;;#ASMEND
	ds_read_b128 v[81:84], v40 offset:32
	ds_read_b128 v[85:88], v31 offset:32
	;; [unrolled: 55-line block ×7, first 2 shown]
	ds_read_b128 v[89:92], v31 offset:1264
	ds_read_b128 v[93:96], v40 offset:4720
	s_waitcnt lgkmcnt(2)
	;;#ASMSTART
	v_dot2_f32_f16 v71, v81, v85, v71
	;;#ASMEND
	;;#ASMSTART
	v_dot2_f32_f16 v71, v82, v86, v71
	;;#ASMEND
	;;#ASMSTART
	v_dot2_f32_f16 v71, v83, v87, v71
	;;#ASMEND
	;;#ASMSTART
	v_dot2_f32_f16 v71, v84, v88, v71
	;;#ASMEND
	s_waitcnt lgkmcnt(1)
	;;#ASMSTART
	v_dot2_f32_f16 v72, v81, v89, v72
	;;#ASMEND
	;;#ASMSTART
	v_dot2_f32_f16 v72, v82, v90, v72
	;;#ASMEND
	;;#ASMSTART
	v_dot2_f32_f16 v72, v83, v91, v72
	;;#ASMEND
	;;#ASMSTART
	v_dot2_f32_f16 v72, v84, v92, v72
	;;#ASMEND
	;; [unrolled: 13-line block ×3, first 2 shown]
	;;#ASMSTART
	v_dot2_f32_f16 v74, v93, v89, v74
	;;#ASMEND
	;;#ASMSTART
	v_dot2_f32_f16 v74, v94, v90, v74
	;;#ASMEND
	;; [unrolled: 3-line block ×4, first 2 shown]
	s_barrier
	buffer_gl0_inv
	s_clause 0x1
	global_load_dwordx4 v[81:84], v[27:28], off offset:128
	global_load_dwordx4 v[85:88], v[25:26], off offset:128
	v_add_co_u32 v8, vcc_lo, v44, s18
	s_waitcnt vmcnt(1)
	ds_write_b128 v38, v[81:84]
	s_waitcnt vmcnt(0)
	ds_write_b128 v39, v[85:88]
	s_waitcnt lgkmcnt(0)
	s_barrier
	buffer_gl0_inv
	ds_read_b128 v[81:84], v40
	ds_read_b128 v[85:88], v31 offset:128
	ds_read_b128 v[89:92], v31 offset:1280
	ds_read_b128 v[93:96], v40 offset:4608
	s_waitcnt lgkmcnt(2)
	;;#ASMSTART
	v_dot2_f32_f16 v71, v81, v85, v71
	;;#ASMEND
	;;#ASMSTART
	v_dot2_f32_f16 v71, v82, v86, v71
	;;#ASMEND
	;;#ASMSTART
	v_dot2_f32_f16 v71, v83, v87, v71
	;;#ASMEND
	;;#ASMSTART
	v_dot2_f32_f16 v71, v84, v88, v71
	;;#ASMEND
	s_waitcnt lgkmcnt(1)
	;;#ASMSTART
	v_dot2_f32_f16 v72, v81, v89, v72
	;;#ASMEND
	;;#ASMSTART
	v_dot2_f32_f16 v72, v82, v90, v72
	;;#ASMEND
	;;#ASMSTART
	v_dot2_f32_f16 v72, v83, v91, v72
	;;#ASMEND
	;;#ASMSTART
	v_dot2_f32_f16 v72, v84, v92, v72
	;;#ASMEND
	s_waitcnt lgkmcnt(0)
	;;#ASMSTART
	v_dot2_f32_f16 v73, v93, v85, v73
	;;#ASMEND
	;;#ASMSTART
	v_dot2_f32_f16 v73, v94, v86, v73
	;;#ASMEND
	;;#ASMSTART
	v_dot2_f32_f16 v73, v95, v87, v73
	;;#ASMEND
	;;#ASMSTART
	v_dot2_f32_f16 v73, v96, v88, v73
	;;#ASMEND
	;;#ASMSTART
	v_dot2_f32_f16 v74, v93, v89, v74
	;;#ASMEND
	;;#ASMSTART
	v_dot2_f32_f16 v74, v94, v90, v74
	;;#ASMEND
	;;#ASMSTART
	v_dot2_f32_f16 v74, v95, v91, v74
	;;#ASMEND
	;;#ASMSTART
	v_dot2_f32_f16 v74, v96, v92, v74
	;;#ASMEND
	ds_read_b128 v[81:84], v40 offset:16
	ds_read_b128 v[85:88], v31 offset:144
	ds_read_b128 v[89:92], v31 offset:1296
	ds_read_b128 v[93:96], v40 offset:4624
	s_waitcnt lgkmcnt(2)
	;;#ASMSTART
	v_dot2_f32_f16 v71, v81, v85, v71
	;;#ASMEND
	;;#ASMSTART
	v_dot2_f32_f16 v71, v82, v86, v71
	;;#ASMEND
	;;#ASMSTART
	v_dot2_f32_f16 v71, v83, v87, v71
	;;#ASMEND
	;;#ASMSTART
	v_dot2_f32_f16 v71, v84, v88, v71
	;;#ASMEND
	s_waitcnt lgkmcnt(1)
	;;#ASMSTART
	v_dot2_f32_f16 v72, v81, v89, v72
	;;#ASMEND
	;;#ASMSTART
	v_dot2_f32_f16 v72, v82, v90, v72
	;;#ASMEND
	;;#ASMSTART
	v_dot2_f32_f16 v72, v83, v91, v72
	;;#ASMEND
	;;#ASMSTART
	v_dot2_f32_f16 v72, v84, v92, v72
	;;#ASMEND
	s_waitcnt lgkmcnt(0)
	;;#ASMSTART
	v_dot2_f32_f16 v73, v93, v85, v73
	;;#ASMEND
	;;#ASMSTART
	v_dot2_f32_f16 v73, v94, v86, v73
	;;#ASMEND
	;;#ASMSTART
	v_dot2_f32_f16 v73, v95, v87, v73
	;;#ASMEND
	;;#ASMSTART
	v_dot2_f32_f16 v73, v96, v88, v73
	;;#ASMEND
	;;#ASMSTART
	v_dot2_f32_f16 v74, v93, v89, v74
	;;#ASMEND
	;;#ASMSTART
	v_dot2_f32_f16 v74, v94, v90, v74
	;;#ASMEND
	;;#ASMSTART
	v_dot2_f32_f16 v74, v95, v91, v74
	;;#ASMEND
	;;#ASMSTART
	v_dot2_f32_f16 v74, v96, v92, v74
	;;#ASMEND
	ds_read_b128 v[81:84], v40 offset:32
	;; [unrolled: 55-line block ×7, first 2 shown]
	ds_read_b128 v[85:88], v31 offset:240
	ds_read_b128 v[89:92], v31 offset:1392
	;; [unrolled: 1-line block ×3, first 2 shown]
	s_waitcnt lgkmcnt(2)
	;;#ASMSTART
	v_dot2_f32_f16 v71, v81, v85, v71
	;;#ASMEND
	;;#ASMSTART
	v_dot2_f32_f16 v71, v82, v86, v71
	;;#ASMEND
	;;#ASMSTART
	v_dot2_f32_f16 v71, v83, v87, v71
	;;#ASMEND
	;;#ASMSTART
	v_dot2_f32_f16 v71, v84, v88, v71
	;;#ASMEND
	s_waitcnt lgkmcnt(1)
	;;#ASMSTART
	v_dot2_f32_f16 v72, v81, v89, v72
	;;#ASMEND
	;;#ASMSTART
	v_dot2_f32_f16 v72, v82, v90, v72
	;;#ASMEND
	;;#ASMSTART
	v_dot2_f32_f16 v72, v83, v91, v72
	;;#ASMEND
	;;#ASMSTART
	v_dot2_f32_f16 v72, v84, v92, v72
	;;#ASMEND
	;; [unrolled: 13-line block ×3, first 2 shown]
	;;#ASMSTART
	v_dot2_f32_f16 v74, v93, v89, v74
	;;#ASMEND
	;;#ASMSTART
	v_dot2_f32_f16 v74, v94, v90, v74
	;;#ASMEND
	;; [unrolled: 3-line block ×4, first 2 shown]
	s_barrier
	buffer_gl0_inv
	s_clause 0x1
	global_load_dwordx4 v[81:84], v[27:28], off offset:256
	global_load_dwordx4 v[85:88], v[25:26], off offset:256
	s_waitcnt vmcnt(1)
	ds_write_b128 v38, v[81:84]
	s_waitcnt vmcnt(0)
	ds_write_b128 v39, v[85:88]
	s_waitcnt lgkmcnt(0)
	s_barrier
	buffer_gl0_inv
	ds_read_b128 v[81:84], v40
	ds_read_b128 v[85:88], v31 offset:256
	ds_read_b128 v[89:92], v31 offset:1408
	ds_read_b128 v[93:96], v40 offset:4608
	s_waitcnt lgkmcnt(2)
	;;#ASMSTART
	v_dot2_f32_f16 v71, v81, v85, v71
	;;#ASMEND
	;;#ASMSTART
	v_dot2_f32_f16 v71, v82, v86, v71
	;;#ASMEND
	;;#ASMSTART
	v_dot2_f32_f16 v71, v83, v87, v71
	;;#ASMEND
	;;#ASMSTART
	v_dot2_f32_f16 v71, v84, v88, v71
	;;#ASMEND
	s_waitcnt lgkmcnt(1)
	;;#ASMSTART
	v_dot2_f32_f16 v72, v81, v89, v72
	;;#ASMEND
	;;#ASMSTART
	v_dot2_f32_f16 v72, v82, v90, v72
	;;#ASMEND
	;;#ASMSTART
	v_dot2_f32_f16 v72, v83, v91, v72
	;;#ASMEND
	;;#ASMSTART
	v_dot2_f32_f16 v72, v84, v92, v72
	;;#ASMEND
	s_waitcnt lgkmcnt(0)
	;;#ASMSTART
	v_dot2_f32_f16 v73, v93, v85, v73
	;;#ASMEND
	;;#ASMSTART
	v_dot2_f32_f16 v73, v94, v86, v73
	;;#ASMEND
	;;#ASMSTART
	v_dot2_f32_f16 v73, v95, v87, v73
	;;#ASMEND
	;;#ASMSTART
	v_dot2_f32_f16 v73, v96, v88, v73
	;;#ASMEND
	;;#ASMSTART
	v_dot2_f32_f16 v74, v93, v89, v74
	;;#ASMEND
	;;#ASMSTART
	v_dot2_f32_f16 v74, v94, v90, v74
	;;#ASMEND
	;;#ASMSTART
	v_dot2_f32_f16 v74, v95, v91, v74
	;;#ASMEND
	;;#ASMSTART
	v_dot2_f32_f16 v74, v96, v92, v74
	;;#ASMEND
	ds_read_b128 v[81:84], v40 offset:16
	ds_read_b128 v[85:88], v31 offset:272
	ds_read_b128 v[89:92], v31 offset:1424
	ds_read_b128 v[93:96], v40 offset:4624
	s_waitcnt lgkmcnt(2)
	;;#ASMSTART
	v_dot2_f32_f16 v71, v81, v85, v71
	;;#ASMEND
	;;#ASMSTART
	v_dot2_f32_f16 v71, v82, v86, v71
	;;#ASMEND
	;;#ASMSTART
	v_dot2_f32_f16 v71, v83, v87, v71
	;;#ASMEND
	;;#ASMSTART
	v_dot2_f32_f16 v71, v84, v88, v71
	;;#ASMEND
	s_waitcnt lgkmcnt(1)
	;;#ASMSTART
	v_dot2_f32_f16 v72, v81, v89, v72
	;;#ASMEND
	;;#ASMSTART
	v_dot2_f32_f16 v72, v82, v90, v72
	;;#ASMEND
	;;#ASMSTART
	v_dot2_f32_f16 v72, v83, v91, v72
	;;#ASMEND
	;;#ASMSTART
	v_dot2_f32_f16 v72, v84, v92, v72
	;;#ASMEND
	s_waitcnt lgkmcnt(0)
	;;#ASMSTART
	v_dot2_f32_f16 v73, v93, v85, v73
	;;#ASMEND
	;;#ASMSTART
	v_dot2_f32_f16 v73, v94, v86, v73
	;;#ASMEND
	;;#ASMSTART
	v_dot2_f32_f16 v73, v95, v87, v73
	;;#ASMEND
	;;#ASMSTART
	v_dot2_f32_f16 v73, v96, v88, v73
	;;#ASMEND
	;;#ASMSTART
	v_dot2_f32_f16 v74, v93, v89, v74
	;;#ASMEND
	;;#ASMSTART
	v_dot2_f32_f16 v74, v94, v90, v74
	;;#ASMEND
	;;#ASMSTART
	v_dot2_f32_f16 v74, v95, v91, v74
	;;#ASMEND
	;;#ASMSTART
	v_dot2_f32_f16 v74, v96, v92, v74
	;;#ASMEND
	ds_read_b128 v[81:84], v40 offset:32
	;; [unrolled: 55-line block ×7, first 2 shown]
	ds_read_b128 v[85:88], v31 offset:368
	ds_read_b128 v[89:92], v31 offset:1520
	;; [unrolled: 1-line block ×3, first 2 shown]
	s_waitcnt lgkmcnt(2)
	;;#ASMSTART
	v_dot2_f32_f16 v71, v81, v85, v71
	;;#ASMEND
	;;#ASMSTART
	v_dot2_f32_f16 v71, v82, v86, v71
	;;#ASMEND
	;;#ASMSTART
	v_dot2_f32_f16 v71, v83, v87, v71
	;;#ASMEND
	;;#ASMSTART
	v_dot2_f32_f16 v71, v84, v88, v71
	;;#ASMEND
	s_waitcnt lgkmcnt(1)
	;;#ASMSTART
	v_dot2_f32_f16 v72, v81, v89, v72
	;;#ASMEND
	;;#ASMSTART
	v_dot2_f32_f16 v72, v82, v90, v72
	;;#ASMEND
	;;#ASMSTART
	v_dot2_f32_f16 v72, v83, v91, v72
	;;#ASMEND
	;;#ASMSTART
	v_dot2_f32_f16 v72, v84, v92, v72
	;;#ASMEND
	s_waitcnt lgkmcnt(0)
	;;#ASMSTART
	v_dot2_f32_f16 v73, v93, v85, v73
	;;#ASMEND
	;;#ASMSTART
	v_dot2_f32_f16 v73, v94, v86, v73
	;;#ASMEND
	;;#ASMSTART
	v_dot2_f32_f16 v73, v95, v87, v73
	;;#ASMEND
	;;#ASMSTART
	v_dot2_f32_f16 v73, v96, v88, v73
	;;#ASMEND
	;;#ASMSTART
	v_dot2_f32_f16 v74, v93, v89, v74
	;;#ASMEND
	;;#ASMSTART
	v_dot2_f32_f16 v74, v94, v90, v74
	;;#ASMEND
	;; [unrolled: 3-line block ×4, first 2 shown]
	s_barrier
	buffer_gl0_inv
	s_clause 0x1
	global_load_dwordx4 v[81:84], v[27:28], off offset:384
	global_load_dwordx4 v[85:88], v[25:26], off offset:384
	s_waitcnt vmcnt(1)
	ds_write_b128 v38, v[81:84]
	s_waitcnt vmcnt(0)
	ds_write_b128 v39, v[85:88]
	s_waitcnt lgkmcnt(0)
	s_barrier
	buffer_gl0_inv
	ds_read_b128 v[81:84], v40
	ds_read_b128 v[85:88], v31 offset:384
	ds_read_b128 v[89:92], v31 offset:1536
	ds_read_b128 v[93:96], v40 offset:4608
	s_waitcnt lgkmcnt(2)
	;;#ASMSTART
	v_dot2_f32_f16 v71, v81, v85, v71
	;;#ASMEND
	;;#ASMSTART
	v_dot2_f32_f16 v71, v82, v86, v71
	;;#ASMEND
	;;#ASMSTART
	v_dot2_f32_f16 v71, v83, v87, v71
	;;#ASMEND
	;;#ASMSTART
	v_dot2_f32_f16 v71, v84, v88, v71
	;;#ASMEND
	s_waitcnt lgkmcnt(1)
	;;#ASMSTART
	v_dot2_f32_f16 v72, v81, v89, v72
	;;#ASMEND
	;;#ASMSTART
	v_dot2_f32_f16 v72, v82, v90, v72
	;;#ASMEND
	;;#ASMSTART
	v_dot2_f32_f16 v72, v83, v91, v72
	;;#ASMEND
	;;#ASMSTART
	v_dot2_f32_f16 v72, v84, v92, v72
	;;#ASMEND
	s_waitcnt lgkmcnt(0)
	;;#ASMSTART
	v_dot2_f32_f16 v73, v93, v85, v73
	;;#ASMEND
	;;#ASMSTART
	v_dot2_f32_f16 v73, v94, v86, v73
	;;#ASMEND
	;;#ASMSTART
	v_dot2_f32_f16 v73, v95, v87, v73
	;;#ASMEND
	;;#ASMSTART
	v_dot2_f32_f16 v73, v96, v88, v73
	;;#ASMEND
	;;#ASMSTART
	v_dot2_f32_f16 v74, v93, v89, v74
	;;#ASMEND
	;;#ASMSTART
	v_dot2_f32_f16 v74, v94, v90, v74
	;;#ASMEND
	;;#ASMSTART
	v_dot2_f32_f16 v74, v95, v91, v74
	;;#ASMEND
	;;#ASMSTART
	v_dot2_f32_f16 v74, v96, v92, v74
	;;#ASMEND
	ds_read_b128 v[81:84], v40 offset:16
	ds_read_b128 v[85:88], v31 offset:400
	ds_read_b128 v[89:92], v31 offset:1552
	ds_read_b128 v[93:96], v40 offset:4624
	s_waitcnt lgkmcnt(2)
	;;#ASMSTART
	v_dot2_f32_f16 v71, v81, v85, v71
	;;#ASMEND
	;;#ASMSTART
	v_dot2_f32_f16 v71, v82, v86, v71
	;;#ASMEND
	;;#ASMSTART
	v_dot2_f32_f16 v71, v83, v87, v71
	;;#ASMEND
	;;#ASMSTART
	v_dot2_f32_f16 v71, v84, v88, v71
	;;#ASMEND
	s_waitcnt lgkmcnt(1)
	;;#ASMSTART
	v_dot2_f32_f16 v72, v81, v89, v72
	;;#ASMEND
	;;#ASMSTART
	v_dot2_f32_f16 v72, v82, v90, v72
	;;#ASMEND
	;;#ASMSTART
	v_dot2_f32_f16 v72, v83, v91, v72
	;;#ASMEND
	;;#ASMSTART
	v_dot2_f32_f16 v72, v84, v92, v72
	;;#ASMEND
	s_waitcnt lgkmcnt(0)
	;;#ASMSTART
	v_dot2_f32_f16 v73, v93, v85, v73
	;;#ASMEND
	;;#ASMSTART
	v_dot2_f32_f16 v73, v94, v86, v73
	;;#ASMEND
	;;#ASMSTART
	v_dot2_f32_f16 v73, v95, v87, v73
	;;#ASMEND
	;;#ASMSTART
	v_dot2_f32_f16 v73, v96, v88, v73
	;;#ASMEND
	;;#ASMSTART
	v_dot2_f32_f16 v74, v93, v89, v74
	;;#ASMEND
	;;#ASMSTART
	v_dot2_f32_f16 v74, v94, v90, v74
	;;#ASMEND
	;;#ASMSTART
	v_dot2_f32_f16 v74, v95, v91, v74
	;;#ASMEND
	;;#ASMSTART
	v_dot2_f32_f16 v74, v96, v92, v74
	;;#ASMEND
	ds_read_b128 v[81:84], v40 offset:32
	;; [unrolled: 55-line block ×7, first 2 shown]
	ds_read_b128 v[85:88], v31 offset:496
	ds_read_b128 v[89:92], v31 offset:1648
	;; [unrolled: 1-line block ×3, first 2 shown]
	s_waitcnt lgkmcnt(2)
	;;#ASMSTART
	v_dot2_f32_f16 v71, v81, v85, v71
	;;#ASMEND
	;;#ASMSTART
	v_dot2_f32_f16 v71, v82, v86, v71
	;;#ASMEND
	;;#ASMSTART
	v_dot2_f32_f16 v71, v83, v87, v71
	;;#ASMEND
	;;#ASMSTART
	v_dot2_f32_f16 v71, v84, v88, v71
	;;#ASMEND
	s_waitcnt lgkmcnt(1)
	;;#ASMSTART
	v_dot2_f32_f16 v72, v81, v89, v72
	;;#ASMEND
	;;#ASMSTART
	v_dot2_f32_f16 v72, v82, v90, v72
	;;#ASMEND
	;;#ASMSTART
	v_dot2_f32_f16 v72, v83, v91, v72
	;;#ASMEND
	;;#ASMSTART
	v_dot2_f32_f16 v72, v84, v92, v72
	;;#ASMEND
	;; [unrolled: 13-line block ×3, first 2 shown]
	;;#ASMSTART
	v_dot2_f32_f16 v74, v93, v89, v74
	;;#ASMEND
	;;#ASMSTART
	v_dot2_f32_f16 v74, v94, v90, v74
	;;#ASMEND
	;; [unrolled: 3-line block ×4, first 2 shown]
	s_barrier
	buffer_gl0_inv
	s_clause 0x1
	global_load_dwordx4 v[81:84], v[27:28], off offset:512
	global_load_dwordx4 v[85:88], v[25:26], off offset:512
	s_waitcnt vmcnt(1)
	ds_write_b128 v38, v[81:84]
	s_waitcnt vmcnt(0)
	ds_write_b128 v39, v[85:88]
	s_waitcnt lgkmcnt(0)
	s_barrier
	buffer_gl0_inv
	ds_read_b128 v[81:84], v40
	ds_read_b128 v[85:88], v31 offset:512
	ds_read_b128 v[89:92], v31 offset:1664
	ds_read_b128 v[93:96], v40 offset:4608
	s_waitcnt lgkmcnt(2)
	;;#ASMSTART
	v_dot2_f32_f16 v71, v81, v85, v71
	;;#ASMEND
	;;#ASMSTART
	v_dot2_f32_f16 v71, v82, v86, v71
	;;#ASMEND
	;;#ASMSTART
	v_dot2_f32_f16 v71, v83, v87, v71
	;;#ASMEND
	;;#ASMSTART
	v_dot2_f32_f16 v71, v84, v88, v71
	;;#ASMEND
	s_waitcnt lgkmcnt(1)
	;;#ASMSTART
	v_dot2_f32_f16 v72, v81, v89, v72
	;;#ASMEND
	;;#ASMSTART
	v_dot2_f32_f16 v72, v82, v90, v72
	;;#ASMEND
	;;#ASMSTART
	v_dot2_f32_f16 v72, v83, v91, v72
	;;#ASMEND
	;;#ASMSTART
	v_dot2_f32_f16 v72, v84, v92, v72
	;;#ASMEND
	s_waitcnt lgkmcnt(0)
	;;#ASMSTART
	v_dot2_f32_f16 v73, v93, v85, v73
	;;#ASMEND
	;;#ASMSTART
	v_dot2_f32_f16 v73, v94, v86, v73
	;;#ASMEND
	;;#ASMSTART
	v_dot2_f32_f16 v73, v95, v87, v73
	;;#ASMEND
	;;#ASMSTART
	v_dot2_f32_f16 v73, v96, v88, v73
	;;#ASMEND
	;;#ASMSTART
	v_dot2_f32_f16 v74, v93, v89, v74
	;;#ASMEND
	;;#ASMSTART
	v_dot2_f32_f16 v74, v94, v90, v74
	;;#ASMEND
	;;#ASMSTART
	v_dot2_f32_f16 v74, v95, v91, v74
	;;#ASMEND
	;;#ASMSTART
	v_dot2_f32_f16 v74, v96, v92, v74
	;;#ASMEND
	ds_read_b128 v[81:84], v40 offset:16
	ds_read_b128 v[85:88], v31 offset:528
	ds_read_b128 v[89:92], v31 offset:1680
	ds_read_b128 v[93:96], v40 offset:4624
	s_waitcnt lgkmcnt(2)
	;;#ASMSTART
	v_dot2_f32_f16 v71, v81, v85, v71
	;;#ASMEND
	;;#ASMSTART
	v_dot2_f32_f16 v71, v82, v86, v71
	;;#ASMEND
	;;#ASMSTART
	v_dot2_f32_f16 v71, v83, v87, v71
	;;#ASMEND
	;;#ASMSTART
	v_dot2_f32_f16 v71, v84, v88, v71
	;;#ASMEND
	s_waitcnt lgkmcnt(1)
	;;#ASMSTART
	v_dot2_f32_f16 v72, v81, v89, v72
	;;#ASMEND
	;;#ASMSTART
	v_dot2_f32_f16 v72, v82, v90, v72
	;;#ASMEND
	;;#ASMSTART
	v_dot2_f32_f16 v72, v83, v91, v72
	;;#ASMEND
	;;#ASMSTART
	v_dot2_f32_f16 v72, v84, v92, v72
	;;#ASMEND
	s_waitcnt lgkmcnt(0)
	;;#ASMSTART
	v_dot2_f32_f16 v73, v93, v85, v73
	;;#ASMEND
	;;#ASMSTART
	v_dot2_f32_f16 v73, v94, v86, v73
	;;#ASMEND
	;;#ASMSTART
	v_dot2_f32_f16 v73, v95, v87, v73
	;;#ASMEND
	;;#ASMSTART
	v_dot2_f32_f16 v73, v96, v88, v73
	;;#ASMEND
	;;#ASMSTART
	v_dot2_f32_f16 v74, v93, v89, v74
	;;#ASMEND
	;;#ASMSTART
	v_dot2_f32_f16 v74, v94, v90, v74
	;;#ASMEND
	;;#ASMSTART
	v_dot2_f32_f16 v74, v95, v91, v74
	;;#ASMEND
	;;#ASMSTART
	v_dot2_f32_f16 v74, v96, v92, v74
	;;#ASMEND
	ds_read_b128 v[81:84], v40 offset:32
	;; [unrolled: 55-line block ×7, first 2 shown]
	ds_read_b128 v[85:88], v31 offset:624
	ds_read_b128 v[89:92], v31 offset:1776
	;; [unrolled: 1-line block ×3, first 2 shown]
	s_waitcnt lgkmcnt(2)
	;;#ASMSTART
	v_dot2_f32_f16 v71, v81, v85, v71
	;;#ASMEND
	;;#ASMSTART
	v_dot2_f32_f16 v71, v82, v86, v71
	;;#ASMEND
	;;#ASMSTART
	v_dot2_f32_f16 v71, v83, v87, v71
	;;#ASMEND
	;;#ASMSTART
	v_dot2_f32_f16 v71, v84, v88, v71
	;;#ASMEND
	s_waitcnt lgkmcnt(1)
	;;#ASMSTART
	v_dot2_f32_f16 v72, v81, v89, v72
	;;#ASMEND
	;;#ASMSTART
	v_dot2_f32_f16 v72, v82, v90, v72
	;;#ASMEND
	;;#ASMSTART
	v_dot2_f32_f16 v72, v83, v91, v72
	;;#ASMEND
	;;#ASMSTART
	v_dot2_f32_f16 v72, v84, v92, v72
	;;#ASMEND
	;; [unrolled: 13-line block ×3, first 2 shown]
	;;#ASMSTART
	v_dot2_f32_f16 v74, v93, v89, v74
	;;#ASMEND
	;;#ASMSTART
	v_dot2_f32_f16 v74, v94, v90, v74
	;;#ASMEND
	;; [unrolled: 3-line block ×4, first 2 shown]
	s_barrier
	buffer_gl0_inv
	s_clause 0x1
	global_load_dwordx4 v[81:84], v[27:28], off offset:640
	global_load_dwordx4 v[85:88], v[25:26], off offset:640
	s_waitcnt vmcnt(1)
	ds_write_b128 v38, v[81:84]
	s_waitcnt vmcnt(0)
	ds_write_b128 v39, v[85:88]
	s_waitcnt lgkmcnt(0)
	s_barrier
	buffer_gl0_inv
	ds_read_b128 v[81:84], v40
	ds_read_b128 v[85:88], v31 offset:640
	ds_read_b128 v[89:92], v31 offset:1792
	ds_read_b128 v[93:96], v40 offset:4608
	s_waitcnt lgkmcnt(2)
	;;#ASMSTART
	v_dot2_f32_f16 v71, v81, v85, v71
	;;#ASMEND
	;;#ASMSTART
	v_dot2_f32_f16 v71, v82, v86, v71
	;;#ASMEND
	;;#ASMSTART
	v_dot2_f32_f16 v71, v83, v87, v71
	;;#ASMEND
	;;#ASMSTART
	v_dot2_f32_f16 v71, v84, v88, v71
	;;#ASMEND
	s_waitcnt lgkmcnt(1)
	;;#ASMSTART
	v_dot2_f32_f16 v72, v81, v89, v72
	;;#ASMEND
	;;#ASMSTART
	v_dot2_f32_f16 v72, v82, v90, v72
	;;#ASMEND
	;;#ASMSTART
	v_dot2_f32_f16 v72, v83, v91, v72
	;;#ASMEND
	;;#ASMSTART
	v_dot2_f32_f16 v72, v84, v92, v72
	;;#ASMEND
	s_waitcnt lgkmcnt(0)
	;;#ASMSTART
	v_dot2_f32_f16 v73, v93, v85, v73
	;;#ASMEND
	;;#ASMSTART
	v_dot2_f32_f16 v73, v94, v86, v73
	;;#ASMEND
	;;#ASMSTART
	v_dot2_f32_f16 v73, v95, v87, v73
	;;#ASMEND
	;;#ASMSTART
	v_dot2_f32_f16 v73, v96, v88, v73
	;;#ASMEND
	;;#ASMSTART
	v_dot2_f32_f16 v74, v93, v89, v74
	;;#ASMEND
	;;#ASMSTART
	v_dot2_f32_f16 v74, v94, v90, v74
	;;#ASMEND
	;;#ASMSTART
	v_dot2_f32_f16 v74, v95, v91, v74
	;;#ASMEND
	;;#ASMSTART
	v_dot2_f32_f16 v74, v96, v92, v74
	;;#ASMEND
	ds_read_b128 v[81:84], v40 offset:16
	ds_read_b128 v[85:88], v31 offset:656
	ds_read_b128 v[89:92], v31 offset:1808
	ds_read_b128 v[93:96], v40 offset:4624
	s_waitcnt lgkmcnt(2)
	;;#ASMSTART
	v_dot2_f32_f16 v71, v81, v85, v71
	;;#ASMEND
	;;#ASMSTART
	v_dot2_f32_f16 v71, v82, v86, v71
	;;#ASMEND
	;;#ASMSTART
	v_dot2_f32_f16 v71, v83, v87, v71
	;;#ASMEND
	;;#ASMSTART
	v_dot2_f32_f16 v71, v84, v88, v71
	;;#ASMEND
	s_waitcnt lgkmcnt(1)
	;;#ASMSTART
	v_dot2_f32_f16 v72, v81, v89, v72
	;;#ASMEND
	;;#ASMSTART
	v_dot2_f32_f16 v72, v82, v90, v72
	;;#ASMEND
	;;#ASMSTART
	v_dot2_f32_f16 v72, v83, v91, v72
	;;#ASMEND
	;;#ASMSTART
	v_dot2_f32_f16 v72, v84, v92, v72
	;;#ASMEND
	s_waitcnt lgkmcnt(0)
	;;#ASMSTART
	v_dot2_f32_f16 v73, v93, v85, v73
	;;#ASMEND
	;;#ASMSTART
	v_dot2_f32_f16 v73, v94, v86, v73
	;;#ASMEND
	;;#ASMSTART
	v_dot2_f32_f16 v73, v95, v87, v73
	;;#ASMEND
	;;#ASMSTART
	v_dot2_f32_f16 v73, v96, v88, v73
	;;#ASMEND
	;;#ASMSTART
	v_dot2_f32_f16 v74, v93, v89, v74
	;;#ASMEND
	;;#ASMSTART
	v_dot2_f32_f16 v74, v94, v90, v74
	;;#ASMEND
	;;#ASMSTART
	v_dot2_f32_f16 v74, v95, v91, v74
	;;#ASMEND
	;;#ASMSTART
	v_dot2_f32_f16 v74, v96, v92, v74
	;;#ASMEND
	ds_read_b128 v[81:84], v40 offset:32
	;; [unrolled: 55-line block ×7, first 2 shown]
	ds_read_b128 v[85:88], v31 offset:752
	ds_read_b128 v[89:92], v31 offset:1904
	;; [unrolled: 1-line block ×3, first 2 shown]
	s_waitcnt lgkmcnt(2)
	;;#ASMSTART
	v_dot2_f32_f16 v71, v81, v85, v71
	;;#ASMEND
	;;#ASMSTART
	v_dot2_f32_f16 v71, v82, v86, v71
	;;#ASMEND
	;;#ASMSTART
	v_dot2_f32_f16 v71, v83, v87, v71
	;;#ASMEND
	;;#ASMSTART
	v_dot2_f32_f16 v71, v84, v88, v71
	;;#ASMEND
	s_waitcnt lgkmcnt(1)
	;;#ASMSTART
	v_dot2_f32_f16 v72, v81, v89, v72
	;;#ASMEND
	;;#ASMSTART
	v_dot2_f32_f16 v72, v82, v90, v72
	;;#ASMEND
	;;#ASMSTART
	v_dot2_f32_f16 v72, v83, v91, v72
	;;#ASMEND
	;;#ASMSTART
	v_dot2_f32_f16 v72, v84, v92, v72
	;;#ASMEND
	;; [unrolled: 13-line block ×3, first 2 shown]
	;;#ASMSTART
	v_dot2_f32_f16 v74, v93, v89, v74
	;;#ASMEND
	;;#ASMSTART
	v_dot2_f32_f16 v74, v94, v90, v74
	;;#ASMEND
	;; [unrolled: 3-line block ×4, first 2 shown]
	s_barrier
	buffer_gl0_inv
	s_clause 0x1
	global_load_dwordx4 v[81:84], v[27:28], off offset:768
	global_load_dwordx4 v[85:88], v[25:26], off offset:768
	s_waitcnt vmcnt(1)
	ds_write_b128 v38, v[81:84]
	s_waitcnt vmcnt(0)
	ds_write_b128 v39, v[85:88]
	s_waitcnt lgkmcnt(0)
	s_barrier
	buffer_gl0_inv
	ds_read_b128 v[81:84], v40
	ds_read_b128 v[85:88], v31 offset:768
	ds_read_b128 v[89:92], v31 offset:1920
	ds_read_b128 v[93:96], v40 offset:4608
	s_waitcnt lgkmcnt(2)
	;;#ASMSTART
	v_dot2_f32_f16 v71, v81, v85, v71
	;;#ASMEND
	;;#ASMSTART
	v_dot2_f32_f16 v71, v82, v86, v71
	;;#ASMEND
	;;#ASMSTART
	v_dot2_f32_f16 v71, v83, v87, v71
	;;#ASMEND
	;;#ASMSTART
	v_dot2_f32_f16 v71, v84, v88, v71
	;;#ASMEND
	s_waitcnt lgkmcnt(1)
	;;#ASMSTART
	v_dot2_f32_f16 v72, v81, v89, v72
	;;#ASMEND
	;;#ASMSTART
	v_dot2_f32_f16 v72, v82, v90, v72
	;;#ASMEND
	;;#ASMSTART
	v_dot2_f32_f16 v72, v83, v91, v72
	;;#ASMEND
	;;#ASMSTART
	v_dot2_f32_f16 v72, v84, v92, v72
	;;#ASMEND
	s_waitcnt lgkmcnt(0)
	;;#ASMSTART
	v_dot2_f32_f16 v73, v93, v85, v73
	;;#ASMEND
	;;#ASMSTART
	v_dot2_f32_f16 v73, v94, v86, v73
	;;#ASMEND
	;;#ASMSTART
	v_dot2_f32_f16 v73, v95, v87, v73
	;;#ASMEND
	;;#ASMSTART
	v_dot2_f32_f16 v73, v96, v88, v73
	;;#ASMEND
	;;#ASMSTART
	v_dot2_f32_f16 v74, v93, v89, v74
	;;#ASMEND
	;;#ASMSTART
	v_dot2_f32_f16 v74, v94, v90, v74
	;;#ASMEND
	;;#ASMSTART
	v_dot2_f32_f16 v74, v95, v91, v74
	;;#ASMEND
	;;#ASMSTART
	v_dot2_f32_f16 v74, v96, v92, v74
	;;#ASMEND
	ds_read_b128 v[81:84], v40 offset:16
	ds_read_b128 v[85:88], v31 offset:784
	ds_read_b128 v[89:92], v31 offset:1936
	ds_read_b128 v[93:96], v40 offset:4624
	s_waitcnt lgkmcnt(2)
	;;#ASMSTART
	v_dot2_f32_f16 v71, v81, v85, v71
	;;#ASMEND
	;;#ASMSTART
	v_dot2_f32_f16 v71, v82, v86, v71
	;;#ASMEND
	;;#ASMSTART
	v_dot2_f32_f16 v71, v83, v87, v71
	;;#ASMEND
	;;#ASMSTART
	v_dot2_f32_f16 v71, v84, v88, v71
	;;#ASMEND
	s_waitcnt lgkmcnt(1)
	;;#ASMSTART
	v_dot2_f32_f16 v72, v81, v89, v72
	;;#ASMEND
	;;#ASMSTART
	v_dot2_f32_f16 v72, v82, v90, v72
	;;#ASMEND
	;;#ASMSTART
	v_dot2_f32_f16 v72, v83, v91, v72
	;;#ASMEND
	;;#ASMSTART
	v_dot2_f32_f16 v72, v84, v92, v72
	;;#ASMEND
	s_waitcnt lgkmcnt(0)
	;;#ASMSTART
	v_dot2_f32_f16 v73, v93, v85, v73
	;;#ASMEND
	;;#ASMSTART
	v_dot2_f32_f16 v73, v94, v86, v73
	;;#ASMEND
	;;#ASMSTART
	v_dot2_f32_f16 v73, v95, v87, v73
	;;#ASMEND
	;;#ASMSTART
	v_dot2_f32_f16 v73, v96, v88, v73
	;;#ASMEND
	;;#ASMSTART
	v_dot2_f32_f16 v74, v93, v89, v74
	;;#ASMEND
	;;#ASMSTART
	v_dot2_f32_f16 v74, v94, v90, v74
	;;#ASMEND
	;;#ASMSTART
	v_dot2_f32_f16 v74, v95, v91, v74
	;;#ASMEND
	;;#ASMSTART
	v_dot2_f32_f16 v74, v96, v92, v74
	;;#ASMEND
	ds_read_b128 v[81:84], v40 offset:32
	;; [unrolled: 55-line block ×7, first 2 shown]
	ds_read_b128 v[85:88], v31 offset:880
	ds_read_b128 v[89:92], v31 offset:2032
	ds_read_b128 v[93:96], v40 offset:4720
	s_waitcnt lgkmcnt(2)
	;;#ASMSTART
	v_dot2_f32_f16 v71, v81, v85, v71
	;;#ASMEND
	;;#ASMSTART
	v_dot2_f32_f16 v71, v82, v86, v71
	;;#ASMEND
	;;#ASMSTART
	v_dot2_f32_f16 v71, v83, v87, v71
	;;#ASMEND
	;;#ASMSTART
	v_dot2_f32_f16 v71, v84, v88, v71
	;;#ASMEND
	s_waitcnt lgkmcnt(1)
	;;#ASMSTART
	v_dot2_f32_f16 v72, v81, v89, v72
	;;#ASMEND
	;;#ASMSTART
	v_dot2_f32_f16 v72, v82, v90, v72
	;;#ASMEND
	;;#ASMSTART
	v_dot2_f32_f16 v72, v83, v91, v72
	;;#ASMEND
	;;#ASMSTART
	v_dot2_f32_f16 v72, v84, v92, v72
	;;#ASMEND
	;; [unrolled: 13-line block ×3, first 2 shown]
	;;#ASMSTART
	v_dot2_f32_f16 v74, v93, v89, v74
	;;#ASMEND
	;;#ASMSTART
	v_dot2_f32_f16 v74, v94, v90, v74
	;;#ASMEND
	;; [unrolled: 3-line block ×4, first 2 shown]
	s_barrier
	buffer_gl0_inv
	s_clause 0x1
	global_load_dwordx4 v[81:84], v[27:28], off offset:896
	global_load_dwordx4 v[85:88], v[25:26], off offset:896
	s_waitcnt vmcnt(1)
	ds_write_b128 v38, v[81:84]
	s_waitcnt vmcnt(0)
	ds_write_b128 v39, v[85:88]
	s_waitcnt lgkmcnt(0)
	s_barrier
	buffer_gl0_inv
	ds_read_b128 v[81:84], v40
	ds_read_b128 v[85:88], v31 offset:896
	ds_read_b128 v[89:92], v31 offset:2048
	ds_read_b128 v[93:96], v40 offset:4608
	s_waitcnt lgkmcnt(2)
	;;#ASMSTART
	v_dot2_f32_f16 v71, v81, v85, v71
	;;#ASMEND
	;;#ASMSTART
	v_dot2_f32_f16 v71, v82, v86, v71
	;;#ASMEND
	;;#ASMSTART
	v_dot2_f32_f16 v71, v83, v87, v71
	;;#ASMEND
	;;#ASMSTART
	v_dot2_f32_f16 v71, v84, v88, v71
	;;#ASMEND
	s_waitcnt lgkmcnt(1)
	;;#ASMSTART
	v_dot2_f32_f16 v72, v81, v89, v72
	;;#ASMEND
	;;#ASMSTART
	v_dot2_f32_f16 v72, v82, v90, v72
	;;#ASMEND
	;;#ASMSTART
	v_dot2_f32_f16 v72, v83, v91, v72
	;;#ASMEND
	;;#ASMSTART
	v_dot2_f32_f16 v72, v84, v92, v72
	;;#ASMEND
	s_waitcnt lgkmcnt(0)
	;;#ASMSTART
	v_dot2_f32_f16 v73, v93, v85, v73
	;;#ASMEND
	;;#ASMSTART
	v_dot2_f32_f16 v73, v94, v86, v73
	;;#ASMEND
	;;#ASMSTART
	v_dot2_f32_f16 v73, v95, v87, v73
	;;#ASMEND
	;;#ASMSTART
	v_dot2_f32_f16 v73, v96, v88, v73
	;;#ASMEND
	;;#ASMSTART
	v_dot2_f32_f16 v74, v93, v89, v74
	;;#ASMEND
	;;#ASMSTART
	v_dot2_f32_f16 v74, v94, v90, v74
	;;#ASMEND
	;;#ASMSTART
	v_dot2_f32_f16 v74, v95, v91, v74
	;;#ASMEND
	;;#ASMSTART
	v_dot2_f32_f16 v74, v96, v92, v74
	;;#ASMEND
	ds_read_b128 v[81:84], v40 offset:16
	ds_read_b128 v[85:88], v31 offset:912
	ds_read_b128 v[89:92], v31 offset:2064
	ds_read_b128 v[93:96], v40 offset:4624
	s_waitcnt lgkmcnt(2)
	;;#ASMSTART
	v_dot2_f32_f16 v71, v81, v85, v71
	;;#ASMEND
	;;#ASMSTART
	v_dot2_f32_f16 v71, v82, v86, v71
	;;#ASMEND
	;;#ASMSTART
	v_dot2_f32_f16 v71, v83, v87, v71
	;;#ASMEND
	;;#ASMSTART
	v_dot2_f32_f16 v71, v84, v88, v71
	;;#ASMEND
	s_waitcnt lgkmcnt(1)
	;;#ASMSTART
	v_dot2_f32_f16 v72, v81, v89, v72
	;;#ASMEND
	;;#ASMSTART
	v_dot2_f32_f16 v72, v82, v90, v72
	;;#ASMEND
	;;#ASMSTART
	v_dot2_f32_f16 v72, v83, v91, v72
	;;#ASMEND
	;;#ASMSTART
	v_dot2_f32_f16 v72, v84, v92, v72
	;;#ASMEND
	s_waitcnt lgkmcnt(0)
	;;#ASMSTART
	v_dot2_f32_f16 v73, v93, v85, v73
	;;#ASMEND
	;;#ASMSTART
	v_dot2_f32_f16 v73, v94, v86, v73
	;;#ASMEND
	;;#ASMSTART
	v_dot2_f32_f16 v73, v95, v87, v73
	;;#ASMEND
	;;#ASMSTART
	v_dot2_f32_f16 v73, v96, v88, v73
	;;#ASMEND
	;;#ASMSTART
	v_dot2_f32_f16 v74, v93, v89, v74
	;;#ASMEND
	;;#ASMSTART
	v_dot2_f32_f16 v74, v94, v90, v74
	;;#ASMEND
	;;#ASMSTART
	v_dot2_f32_f16 v74, v95, v91, v74
	;;#ASMEND
	;;#ASMSTART
	v_dot2_f32_f16 v74, v96, v92, v74
	;;#ASMEND
	ds_read_b128 v[81:84], v40 offset:32
	ds_read_b128 v[85:88], v31 offset:928
	ds_read_b128 v[89:92], v31 offset:2080
	ds_read_b128 v[93:96], v40 offset:4640
	s_waitcnt lgkmcnt(2)
	;;#ASMSTART
	v_dot2_f32_f16 v71, v81, v85, v71
	;;#ASMEND
	;;#ASMSTART
	v_dot2_f32_f16 v71, v82, v86, v71
	;;#ASMEND
	;;#ASMSTART
	v_dot2_f32_f16 v71, v83, v87, v71
	;;#ASMEND
	;;#ASMSTART
	v_dot2_f32_f16 v71, v84, v88, v71
	;;#ASMEND
	s_waitcnt lgkmcnt(1)
	;;#ASMSTART
	v_dot2_f32_f16 v72, v81, v89, v72
	;;#ASMEND
	;;#ASMSTART
	v_dot2_f32_f16 v72, v82, v90, v72
	;;#ASMEND
	;;#ASMSTART
	v_dot2_f32_f16 v72, v83, v91, v72
	;;#ASMEND
	;;#ASMSTART
	v_dot2_f32_f16 v72, v84, v92, v72
	;;#ASMEND
	s_waitcnt lgkmcnt(0)
	;;#ASMSTART
	v_dot2_f32_f16 v73, v93, v85, v73
	;;#ASMEND
	;;#ASMSTART
	v_dot2_f32_f16 v73, v94, v86, v73
	;;#ASMEND
	;;#ASMSTART
	v_dot2_f32_f16 v73, v95, v87, v73
	;;#ASMEND
	;;#ASMSTART
	v_dot2_f32_f16 v73, v96, v88, v73
	;;#ASMEND
	;;#ASMSTART
	v_dot2_f32_f16 v74, v93, v89, v74
	;;#ASMEND
	;;#ASMSTART
	v_dot2_f32_f16 v74, v94, v90, v74
	;;#ASMEND
	;;#ASMSTART
	v_dot2_f32_f16 v74, v95, v91, v74
	;;#ASMEND
	;;#ASMSTART
	v_dot2_f32_f16 v74, v96, v92, v74
	;;#ASMEND
	ds_read_b128 v[81:84], v40 offset:48
	ds_read_b128 v[85:88], v31 offset:944
	ds_read_b128 v[89:92], v31 offset:2096
	ds_read_b128 v[93:96], v40 offset:4656
	s_waitcnt lgkmcnt(2)
	;;#ASMSTART
	v_dot2_f32_f16 v71, v81, v85, v71
	;;#ASMEND
	;;#ASMSTART
	v_dot2_f32_f16 v71, v82, v86, v71
	;;#ASMEND
	;;#ASMSTART
	v_dot2_f32_f16 v71, v83, v87, v71
	;;#ASMEND
	;;#ASMSTART
	v_dot2_f32_f16 v71, v84, v88, v71
	;;#ASMEND
	s_waitcnt lgkmcnt(1)
	;;#ASMSTART
	v_dot2_f32_f16 v72, v81, v89, v72
	;;#ASMEND
	;;#ASMSTART
	v_dot2_f32_f16 v72, v82, v90, v72
	;;#ASMEND
	;;#ASMSTART
	v_dot2_f32_f16 v72, v83, v91, v72
	;;#ASMEND
	;;#ASMSTART
	v_dot2_f32_f16 v72, v84, v92, v72
	;;#ASMEND
	s_waitcnt lgkmcnt(0)
	;;#ASMSTART
	v_dot2_f32_f16 v73, v93, v85, v73
	;;#ASMEND
	;;#ASMSTART
	v_dot2_f32_f16 v73, v94, v86, v73
	;;#ASMEND
	;;#ASMSTART
	v_dot2_f32_f16 v73, v95, v87, v73
	;;#ASMEND
	;;#ASMSTART
	v_dot2_f32_f16 v73, v96, v88, v73
	;;#ASMEND
	;;#ASMSTART
	v_dot2_f32_f16 v74, v93, v89, v74
	;;#ASMEND
	;;#ASMSTART
	v_dot2_f32_f16 v74, v94, v90, v74
	;;#ASMEND
	;;#ASMSTART
	v_dot2_f32_f16 v74, v95, v91, v74
	;;#ASMEND
	;;#ASMSTART
	v_dot2_f32_f16 v74, v96, v92, v74
	;;#ASMEND
	ds_read_b128 v[81:84], v40 offset:64
	ds_read_b128 v[85:88], v31 offset:960
	ds_read_b128 v[89:92], v31 offset:2112
	ds_read_b128 v[93:96], v40 offset:4672
	s_waitcnt lgkmcnt(2)
	;;#ASMSTART
	v_dot2_f32_f16 v71, v81, v85, v71
	;;#ASMEND
	;;#ASMSTART
	v_dot2_f32_f16 v71, v82, v86, v71
	;;#ASMEND
	;;#ASMSTART
	v_dot2_f32_f16 v71, v83, v87, v71
	;;#ASMEND
	;;#ASMSTART
	v_dot2_f32_f16 v71, v84, v88, v71
	;;#ASMEND
	s_waitcnt lgkmcnt(1)
	;;#ASMSTART
	v_dot2_f32_f16 v72, v81, v89, v72
	;;#ASMEND
	;;#ASMSTART
	v_dot2_f32_f16 v72, v82, v90, v72
	;;#ASMEND
	;;#ASMSTART
	v_dot2_f32_f16 v72, v83, v91, v72
	;;#ASMEND
	;;#ASMSTART
	v_dot2_f32_f16 v72, v84, v92, v72
	;;#ASMEND
	s_waitcnt lgkmcnt(0)
	;;#ASMSTART
	v_dot2_f32_f16 v73, v93, v85, v73
	;;#ASMEND
	;;#ASMSTART
	v_dot2_f32_f16 v73, v94, v86, v73
	;;#ASMEND
	;;#ASMSTART
	v_dot2_f32_f16 v73, v95, v87, v73
	;;#ASMEND
	;;#ASMSTART
	v_dot2_f32_f16 v73, v96, v88, v73
	;;#ASMEND
	;;#ASMSTART
	v_dot2_f32_f16 v74, v93, v89, v74
	;;#ASMEND
	;;#ASMSTART
	v_dot2_f32_f16 v74, v94, v90, v74
	;;#ASMEND
	;;#ASMSTART
	v_dot2_f32_f16 v74, v95, v91, v74
	;;#ASMEND
	;;#ASMSTART
	v_dot2_f32_f16 v74, v96, v92, v74
	;;#ASMEND
	ds_read_b128 v[81:84], v40 offset:80
	ds_read_b128 v[85:88], v31 offset:976
	ds_read_b128 v[89:92], v31 offset:2128
	ds_read_b128 v[93:96], v40 offset:4688
	s_waitcnt lgkmcnt(2)
	;;#ASMSTART
	v_dot2_f32_f16 v71, v81, v85, v71
	;;#ASMEND
	;;#ASMSTART
	v_dot2_f32_f16 v71, v82, v86, v71
	;;#ASMEND
	;;#ASMSTART
	v_dot2_f32_f16 v71, v83, v87, v71
	;;#ASMEND
	;;#ASMSTART
	v_dot2_f32_f16 v71, v84, v88, v71
	;;#ASMEND
	s_waitcnt lgkmcnt(1)
	;;#ASMSTART
	v_dot2_f32_f16 v72, v81, v89, v72
	;;#ASMEND
	;;#ASMSTART
	v_dot2_f32_f16 v72, v82, v90, v72
	;;#ASMEND
	;;#ASMSTART
	v_dot2_f32_f16 v72, v83, v91, v72
	;;#ASMEND
	;;#ASMSTART
	v_dot2_f32_f16 v72, v84, v92, v72
	;;#ASMEND
	s_waitcnt lgkmcnt(0)
	;;#ASMSTART
	v_dot2_f32_f16 v73, v93, v85, v73
	;;#ASMEND
	;;#ASMSTART
	v_dot2_f32_f16 v73, v94, v86, v73
	;;#ASMEND
	;;#ASMSTART
	v_dot2_f32_f16 v73, v95, v87, v73
	;;#ASMEND
	;;#ASMSTART
	v_dot2_f32_f16 v73, v96, v88, v73
	;;#ASMEND
	;;#ASMSTART
	v_dot2_f32_f16 v74, v93, v89, v74
	;;#ASMEND
	;;#ASMSTART
	v_dot2_f32_f16 v74, v94, v90, v74
	;;#ASMEND
	;;#ASMSTART
	v_dot2_f32_f16 v74, v95, v91, v74
	;;#ASMEND
	;;#ASMSTART
	v_dot2_f32_f16 v74, v96, v92, v74
	;;#ASMEND
	ds_read_b128 v[81:84], v40 offset:96
	ds_read_b128 v[85:88], v31 offset:992
	ds_read_b128 v[89:92], v31 offset:2144
	ds_read_b128 v[93:96], v40 offset:4704
	s_waitcnt lgkmcnt(2)
	;;#ASMSTART
	v_dot2_f32_f16 v71, v81, v85, v71
	;;#ASMEND
	;;#ASMSTART
	v_dot2_f32_f16 v71, v82, v86, v71
	;;#ASMEND
	;;#ASMSTART
	v_dot2_f32_f16 v71, v83, v87, v71
	;;#ASMEND
	;;#ASMSTART
	v_dot2_f32_f16 v71, v84, v88, v71
	;;#ASMEND
	s_waitcnt lgkmcnt(1)
	;;#ASMSTART
	v_dot2_f32_f16 v72, v81, v89, v72
	;;#ASMEND
	;;#ASMSTART
	v_dot2_f32_f16 v72, v82, v90, v72
	;;#ASMEND
	;;#ASMSTART
	v_dot2_f32_f16 v72, v83, v91, v72
	;;#ASMEND
	;;#ASMSTART
	v_dot2_f32_f16 v72, v84, v92, v72
	;;#ASMEND
	s_waitcnt lgkmcnt(0)
	;;#ASMSTART
	v_dot2_f32_f16 v73, v93, v85, v73
	;;#ASMEND
	;;#ASMSTART
	v_dot2_f32_f16 v73, v94, v86, v73
	;;#ASMEND
	;;#ASMSTART
	v_dot2_f32_f16 v73, v95, v87, v73
	;;#ASMEND
	;;#ASMSTART
	v_dot2_f32_f16 v73, v96, v88, v73
	;;#ASMEND
	;;#ASMSTART
	v_dot2_f32_f16 v74, v93, v89, v74
	;;#ASMEND
	;;#ASMSTART
	v_dot2_f32_f16 v74, v94, v90, v74
	;;#ASMEND
	;;#ASMSTART
	v_dot2_f32_f16 v74, v95, v91, v74
	;;#ASMEND
	;;#ASMSTART
	v_dot2_f32_f16 v74, v96, v92, v74
	;;#ASMEND
	ds_read_b128 v[81:84], v40 offset:112
	ds_read_b128 v[85:88], v31 offset:1008
	ds_read_b128 v[89:92], v31 offset:2160
	;; [unrolled: 1-line block ×3, first 2 shown]
	s_waitcnt lgkmcnt(2)
	;;#ASMSTART
	v_dot2_f32_f16 v71, v81, v85, v71
	;;#ASMEND
	;;#ASMSTART
	v_dot2_f32_f16 v71, v82, v86, v71
	;;#ASMEND
	;;#ASMSTART
	v_dot2_f32_f16 v71, v83, v87, v71
	;;#ASMEND
	;;#ASMSTART
	v_dot2_f32_f16 v71, v84, v88, v71
	;;#ASMEND
	s_waitcnt lgkmcnt(1)
	;;#ASMSTART
	v_dot2_f32_f16 v72, v81, v89, v72
	;;#ASMEND
	;;#ASMSTART
	v_dot2_f32_f16 v72, v82, v90, v72
	;;#ASMEND
	;;#ASMSTART
	v_dot2_f32_f16 v72, v83, v91, v72
	;;#ASMEND
	;;#ASMSTART
	v_dot2_f32_f16 v72, v84, v92, v72
	;;#ASMEND
	;; [unrolled: 13-line block ×3, first 2 shown]
	;;#ASMSTART
	v_dot2_f32_f16 v74, v93, v89, v74
	;;#ASMEND
	;;#ASMSTART
	v_dot2_f32_f16 v74, v94, v90, v74
	;;#ASMEND
	;; [unrolled: 3-line block ×4, first 2 shown]
	s_barrier
	buffer_gl0_inv
	s_clause 0x1
	global_load_dwordx4 v[81:84], v[27:28], off offset:1024
	global_load_dwordx4 v[25:28], v[25:26], off offset:1024
	s_waitcnt vmcnt(1)
	ds_write_b128 v38, v[81:84]
	s_waitcnt vmcnt(0)
	ds_write_b128 v39, v[25:28]
	s_waitcnt lgkmcnt(0)
	s_barrier
	buffer_gl0_inv
	ds_read_b128 v[25:28], v40
	ds_read_b128 v[81:84], v31 offset:1024
	ds_read_b128 v[85:88], v31 offset:2176
	ds_read_b128 v[89:92], v40 offset:4608
	s_waitcnt lgkmcnt(2)
	;;#ASMSTART
	v_dot2_f32_f16 v71, v25, v81, v71
	;;#ASMEND
	;;#ASMSTART
	v_dot2_f32_f16 v71, v26, v82, v71
	;;#ASMEND
	;;#ASMSTART
	v_dot2_f32_f16 v71, v27, v83, v71
	;;#ASMEND
	;;#ASMSTART
	v_dot2_f32_f16 v71, v28, v84, v71
	;;#ASMEND
	s_waitcnt lgkmcnt(1)
	;;#ASMSTART
	v_dot2_f32_f16 v72, v25, v85, v72
	;;#ASMEND
	;;#ASMSTART
	v_dot2_f32_f16 v72, v26, v86, v72
	;;#ASMEND
	;;#ASMSTART
	v_dot2_f32_f16 v72, v27, v87, v72
	;;#ASMEND
	;;#ASMSTART
	v_dot2_f32_f16 v72, v28, v88, v72
	;;#ASMEND
	s_waitcnt lgkmcnt(0)
	;;#ASMSTART
	v_dot2_f32_f16 v73, v89, v81, v73
	;;#ASMEND
	;;#ASMSTART
	v_dot2_f32_f16 v73, v90, v82, v73
	;;#ASMEND
	;;#ASMSTART
	v_dot2_f32_f16 v73, v91, v83, v73
	;;#ASMEND
	;;#ASMSTART
	v_dot2_f32_f16 v73, v92, v84, v73
	;;#ASMEND
	;;#ASMSTART
	v_dot2_f32_f16 v74, v89, v85, v74
	;;#ASMEND
	;;#ASMSTART
	v_dot2_f32_f16 v74, v90, v86, v74
	;;#ASMEND
	;;#ASMSTART
	v_dot2_f32_f16 v74, v91, v87, v74
	;;#ASMEND
	;;#ASMSTART
	v_dot2_f32_f16 v74, v92, v88, v74
	;;#ASMEND
	ds_read_b128 v[25:28], v40 offset:16
	ds_read_b128 v[81:84], v31 offset:1040
	ds_read_b128 v[85:88], v31 offset:2192
	ds_read_b128 v[89:92], v40 offset:4624
	s_waitcnt lgkmcnt(2)
	;;#ASMSTART
	v_dot2_f32_f16 v71, v25, v81, v71
	;;#ASMEND
	;;#ASMSTART
	v_dot2_f32_f16 v71, v26, v82, v71
	;;#ASMEND
	;;#ASMSTART
	v_dot2_f32_f16 v71, v27, v83, v71
	;;#ASMEND
	;;#ASMSTART
	v_dot2_f32_f16 v71, v28, v84, v71
	;;#ASMEND
	s_waitcnt lgkmcnt(1)
	;;#ASMSTART
	v_dot2_f32_f16 v72, v25, v85, v72
	;;#ASMEND
	;;#ASMSTART
	v_dot2_f32_f16 v72, v26, v86, v72
	;;#ASMEND
	;;#ASMSTART
	v_dot2_f32_f16 v72, v27, v87, v72
	;;#ASMEND
	;;#ASMSTART
	v_dot2_f32_f16 v72, v28, v88, v72
	;;#ASMEND
	s_waitcnt lgkmcnt(0)
	;;#ASMSTART
	v_dot2_f32_f16 v73, v89, v81, v73
	;;#ASMEND
	;;#ASMSTART
	v_dot2_f32_f16 v73, v90, v82, v73
	;;#ASMEND
	;;#ASMSTART
	v_dot2_f32_f16 v73, v91, v83, v73
	;;#ASMEND
	;;#ASMSTART
	v_dot2_f32_f16 v73, v92, v84, v73
	;;#ASMEND
	;;#ASMSTART
	v_dot2_f32_f16 v74, v89, v85, v74
	;;#ASMEND
	;;#ASMSTART
	v_dot2_f32_f16 v74, v90, v86, v74
	;;#ASMEND
	;;#ASMSTART
	v_dot2_f32_f16 v74, v91, v87, v74
	;;#ASMEND
	;;#ASMSTART
	v_dot2_f32_f16 v74, v92, v88, v74
	;;#ASMEND
	ds_read_b128 v[25:28], v40 offset:32
	;; [unrolled: 55-line block ×7, first 2 shown]
	ds_read_b128 v[81:84], v31 offset:1136
	ds_read_b128 v[85:88], v31 offset:2288
	;; [unrolled: 1-line block ×3, first 2 shown]
	s_waitcnt lgkmcnt(2)
	;;#ASMSTART
	v_dot2_f32_f16 v71, v25, v81, v71
	;;#ASMEND
	;;#ASMSTART
	v_dot2_f32_f16 v71, v26, v82, v71
	;;#ASMEND
	;;#ASMSTART
	v_dot2_f32_f16 v71, v27, v83, v71
	;;#ASMEND
	;;#ASMSTART
	v_dot2_f32_f16 v71, v28, v84, v71
	;;#ASMEND
	s_waitcnt lgkmcnt(1)
	;;#ASMSTART
	v_dot2_f32_f16 v72, v25, v85, v72
	;;#ASMEND
	;;#ASMSTART
	v_dot2_f32_f16 v72, v26, v86, v72
	;;#ASMEND
	;;#ASMSTART
	v_dot2_f32_f16 v72, v27, v87, v72
	;;#ASMEND
	;;#ASMSTART
	v_dot2_f32_f16 v72, v28, v88, v72
	;;#ASMEND
	;; [unrolled: 13-line block ×3, first 2 shown]
	;;#ASMSTART
	v_dot2_f32_f16 v74, v89, v85, v74
	;;#ASMEND
	;;#ASMSTART
	v_dot2_f32_f16 v74, v90, v86, v74
	;;#ASMEND
	;; [unrolled: 3-line block ×4, first 2 shown]
	s_clause 0x1
	global_load_ushort v25, v[23:24], off
	global_load_ushort v23, v[23:24], off offset:64
	s_waitcnt vmcnt(0)
	s_barrier
	buffer_gl0_inv
	s_clause 0x1
	global_load_dwordx4 v[81:84], v[13:14], off
	global_load_dwordx4 v[85:88], v[13:14], off offset:512
	v_cvt_f32_f16_e32 v13, v25
	v_cvt_f32_f16_e32 v14, v23
	v_add_f32_e32 v23, v71, v13
	v_add_f32_e32 v24, v73, v14
	;; [unrolled: 1-line block ×8, first 2 shown]
	v_max3_f32 v13, v70, v13, v14
	v_max3_f32 v14, v69, v27, v28
	ds_bpermute_b32 v27, v80, v13
	ds_bpermute_b32 v28, v80, v14
	s_waitcnt lgkmcnt(1)
	v_max_f32_e32 v27, v27, v27
	s_waitcnt lgkmcnt(0)
	v_max_f32_e32 v28, v28, v28
	v_max_f32_e32 v13, v13, v27
	v_max_f32_e32 v14, v14, v28
	ds_bpermute_b32 v27, v79, v13
	ds_bpermute_b32 v28, v79, v14
	s_waitcnt lgkmcnt(1)
	v_max_f32_e32 v27, v27, v27
	s_waitcnt lgkmcnt(0)
	v_max_f32_e32 v28, v28, v28
	v_max_f32_e32 v13, v13, v27
	v_max_f32_e32 v14, v14, v28
	;; [unrolled: 8-line block ×5, first 2 shown]
	v_sub_f32_e32 v27, v70, v13
	v_sub_f32_e32 v23, v23, v13
	;; [unrolled: 1-line block ×6, first 2 shown]
	v_mul_f32_e32 v69, 0x3fb8aa3b, v23
	v_mul_f32_e32 v70, 0x3fb8aa3b, v24
	;; [unrolled: 1-line block ×6, first 2 shown]
	v_fma_f32 v76, 0x3fb8aa3b, v23, -v69
	v_rndne_f32_e32 v77, v69
	v_fma_f32 v78, 0x3fb8aa3b, v24, -v70
	v_rndne_f32_e32 v79, v70
	;; [unrolled: 2-line block ×5, first 2 shown]
	v_cmp_ngt_f32_e64 s0, 0xc2ce8ed0, v24
	v_cmp_ngt_f32_e64 s1, 0xc2ce8ed0, v27
	;; [unrolled: 1-line block ×5, first 2 shown]
	v_cmp_nlt_f32_e64 s8, 0x42b17218, v24
	v_cmp_nlt_f32_e64 s9, 0x42b17218, v27
	;; [unrolled: 1-line block ×5, first 2 shown]
	v_fma_f32 v94, 0x3fb8aa3b, v28, -v74
	v_rndne_f32_e32 v95, v74
	v_fmac_f32_e32 v76, 0x32a5705f, v23
	v_sub_f32_e32 v23, v69, v77
	v_fmac_f32_e32 v78, 0x32a5705f, v24
	v_sub_f32_e32 v24, v70, v79
	v_fmac_f32_e32 v80, 0x32a5705f, v27
	v_sub_f32_e32 v27, v71, v89
	v_fmac_f32_e32 v90, 0x32a5705f, v25
	v_sub_f32_e32 v25, v72, v91
	v_fmac_f32_e32 v92, 0x32a5705f, v26
	v_sub_f32_e32 v26, v73, v93
	v_cmp_ngt_f32_e64 s6, 0xc2ce8ed0, v28
	v_cmp_nlt_f32_e64 s12, 0x42b17218, v28
	v_fmac_f32_e32 v94, 0x32a5705f, v28
	v_sub_f32_e32 v28, v74, v95
	v_add_f32_e32 v23, v23, v76
	v_add_f32_e32 v24, v24, v78
	;; [unrolled: 1-line block ×6, first 2 shown]
	v_exp_f32_e32 v23, v23
	v_exp_f32_e32 v24, v24
	;; [unrolled: 1-line block ×5, first 2 shown]
	v_cvt_i32_f32_e32 v69, v77
	v_cvt_i32_f32_e32 v70, v79
	;; [unrolled: 1-line block ×5, first 2 shown]
	v_exp_f32_e32 v28, v28
	v_cvt_i32_f32_e32 v74, v95
	v_ldexp_f32 v23, v23, v69
	v_ldexp_f32 v24, v24, v70
	;; [unrolled: 1-line block ×5, first 2 shown]
	v_cndmask_b32_e64 v23, 0, v23, s7
	v_cndmask_b32_e64 v24, 0, v24, s0
	;; [unrolled: 1-line block ×3, first 2 shown]
	v_ldexp_f32 v28, v28, v74
	v_cndmask_b32_e64 v25, 0, v25, s2
	v_cndmask_b32_e64 v26, 0, v26, s3
	;; [unrolled: 1-line block ×9, first 2 shown]
	v_cvt_f16_f32_e32 v28, v23
	v_add_f32_e32 v23, v23, v69
	v_cvt_f16_f32_e32 v70, v27
	v_cvt_f16_f32_e32 v69, v69
	;; [unrolled: 1-line block ×5, first 2 shown]
	v_mul_u32_u24_sdwa v74, v70, v48 dst_sel:DWORD dst_unused:UNUSED_PAD src0_sel:WORD_0 src1_sel:DWORD
	v_fmac_f32_e32 v23, v68, v27
	v_pack_b32_f16 v28, v28, v72
	v_pack_b32_f16 v68, v69, v73
	v_mul_u32_u24_sdwa v27, v71, v48 dst_sel:DWORD dst_unused:UNUSED_PAD src0_sel:WORD_0 src1_sel:DWORD
	v_pk_mul_f16 v73, v67, v74
	v_pk_mul_f16 v104, v65, v74
	;; [unrolled: 1-line block ×3, first 2 shown]
	ds_write2_b32 v47, v28, v68 offset1:32
	s_waitcnt vmcnt(1)
	ds_write_b128 v41, v[81:84]
	s_waitcnt vmcnt(0)
	ds_write_b128 v42, v[85:88]
	s_waitcnt lgkmcnt(0)
	s_barrier
	buffer_gl0_inv
	ds_read_b128 v[65:68], v1
	v_pk_mul_f16 v107, v59, v27
	v_pk_mul_f16 v108, v57, v27
	;; [unrolled: 1-line block ×4, first 2 shown]
	ds_read2_b64 v[56:59], v43 offset0:64 offset1:96
	ds_read2_b64 v[69:72], v43 offset1:32
	ds_read_b128 v[76:79], v1 offset:16
	ds_read2_b64 v[80:83], v43 offset0:128 offset1:160
	ds_read2_b64 v[84:87], v43 offset0:192 offset1:224
	ds_read2_b64 v[88:91], v49 offset1:32
	ds_read2_b64 v[92:95], v49 offset0:64 offset1:96
	ds_read2_b64 v[96:99], v49 offset0:128 offset1:160
	ds_read2_b64 v[100:103], v49 offset0:192 offset1:224
	v_pk_mul_f16 v106, v63, v74
	v_pk_mul_f16 v28, v64, v74
	;; [unrolled: 1-line block ×7, first 2 shown]
	s_waitcnt lgkmcnt(9)
	v_mul_u32_u24_sdwa v111, v65, v48 dst_sel:DWORD dst_unused:UNUSED_PAD src0_sel:WORD_0 src1_sel:DWORD
	v_mul_u32_u24_sdwa v112, v65, v48 dst_sel:DWORD dst_unused:UNUSED_PAD src0_sel:WORD_1 src1_sel:DWORD
	v_mul_u32_u24_sdwa v113, v66, v48 dst_sel:DWORD dst_unused:UNUSED_PAD src0_sel:WORD_0 src1_sel:DWORD
	v_mul_u32_u24_sdwa v114, v66, v48 dst_sel:DWORD dst_unused:UNUSED_PAD src0_sel:WORD_1 src1_sel:DWORD
	v_mul_u32_u24_sdwa v115, v67, v48 dst_sel:DWORD dst_unused:UNUSED_PAD src0_sel:WORD_0 src1_sel:DWORD
	s_waitcnt lgkmcnt(8)
	v_pk_fma_f16 v106, v56, v111, v106
	v_pk_fma_f16 v54, v56, v112, v54
	;; [unrolled: 1-line block ×8, first 2 shown]
	s_waitcnt lgkmcnt(7)
	v_pk_fma_f16 v119, v70, v111, v73
	v_pk_fma_f16 v104, v71, v111, v104
	;; [unrolled: 1-line block ×3, first 2 shown]
	v_pk_mul_f16 v73, v69, v111
	v_pk_mul_f16 v111, v69, v112
	v_mul_u32_u24_sdwa v116, v67, v48 dst_sel:DWORD dst_unused:UNUSED_PAD src0_sel:WORD_1 src1_sel:DWORD
	v_pk_fma_f16 v107, v70, v112, v107
	v_pk_fma_f16 v108, v71, v112, v108
	;; [unrolled: 1-line block ×4, first 2 shown]
	s_waitcnt lgkmcnt(4)
	v_pk_fma_f16 v106, v84, v113, v106
	v_pk_fma_f16 v112, v84, v114, v54
	v_pk_fma_f16 v28, v85, v113, v28
	v_pk_fma_f16 v110, v85, v114, v110
	v_pk_fma_f16 v60, v86, v113, v60
	v_pk_fma_f16 v120, v86, v114, v53
	v_pk_fma_f16 v61, v87, v113, v61
	v_pk_fma_f16 v121, v87, v114, v52
	v_pk_fma_f16 v27, v55, v27, v111
	v_mul_u32_u24_sdwa v117, v68, v48 dst_sel:DWORD dst_unused:UNUSED_PAD src0_sel:WORD_0 src1_sel:DWORD
	v_mul_u32_u24_sdwa v118, v68, v48 dst_sel:DWORD dst_unused:UNUSED_PAD src0_sel:WORD_1 src1_sel:DWORD
	v_pk_fma_f16 v119, v81, v113, v119
	v_pk_fma_f16 v104, v82, v113, v104
	;; [unrolled: 1-line block ×8, first 2 shown]
	s_waitcnt lgkmcnt(2)
	v_pk_fma_f16 v106, v92, v115, v106
	v_pk_fma_f16 v92, v92, v116, v112
	;; [unrolled: 1-line block ×8, first 2 shown]
	ds_read2_b64 v[63:66], v50 offset1:32
	ds_read2_b64 v[56:59], v50 offset0:64 offset1:96
	ds_read2_b64 v[67:70], v50 offset0:128 offset1:160
	;; [unrolled: 1-line block ×3, first 2 shown]
	ds_read2_b64 v[84:87], v51 offset1:32
	v_mul_u32_u24_sdwa v111, v76, v48 dst_sel:DWORD dst_unused:UNUSED_PAD src0_sel:WORD_0 src1_sel:DWORD
	v_mul_u32_u24_sdwa v122, v76, v48 dst_sel:DWORD dst_unused:UNUSED_PAD src0_sel:WORD_1 src1_sel:DWORD
	v_mul_u32_u24_sdwa v113, v77, v48 dst_sel:DWORD dst_unused:UNUSED_PAD src0_sel:WORD_0 src1_sel:DWORD
	v_mul_u32_u24_sdwa v107, v77, v48 dst_sel:DWORD dst_unused:UNUSED_PAD src0_sel:WORD_1 src1_sel:DWORD
	;; [unrolled: 2-line block ×4, first 2 shown]
	ds_read2_b64 v[52:55], v51 offset0:64 offset1:96
	ds_read2_b64 v[76:79], v51 offset0:128 offset1:160
	v_pk_fma_f16 v110, v89, v115, v119
	v_pk_fma_f16 v104, v90, v115, v104
	;; [unrolled: 1-line block ×8, first 2 shown]
	ds_read2_b64 v[80:83], v51 offset0:192 offset1:224
	s_waitcnt lgkmcnt(0)
	s_barrier
	buffer_gl0_inv
	v_pk_fma_f16 v106, v100, v117, v106
	v_pk_fma_f16 v100, v100, v118, v92
	v_pk_fma_f16 v28, v101, v117, v28
	v_pk_fma_f16 v101, v101, v118, v93
	v_pk_fma_f16 v60, v102, v117, v60
	v_pk_fma_f16 v102, v102, v118, v94
	v_pk_fma_f16 v61, v103, v117, v61
	v_pk_fma_f16 v103, v103, v118, v95
	s_clause 0x1
	global_load_dwordx4 v[88:91], v[21:22], off
	global_load_dwordx4 v[92:95], v[21:22], off offset:512
	v_pk_fma_f16 v21, v97, v117, v110
	v_pk_fma_f16 v22, v97, v118, v112
	;; [unrolled: 1-line block ×72, first 2 shown]
	s_waitcnt vmcnt(1)
	ds_write_b128 v41, v[88:91]
	s_waitcnt vmcnt(0)
	ds_write_b128 v42, v[92:95]
	s_waitcnt lgkmcnt(0)
	s_barrier
	buffer_gl0_inv
	ds_read_b128 v[52:55], v1 offset:32
	ds_read2_b64 v[56:59], v43 offset1:32
	ds_read2_b64 v[60:63], v43 offset0:64 offset1:96
	ds_read_b128 v[64:67], v1 offset:48
	ds_read2_b64 v[68:71], v43 offset0:128 offset1:160
	ds_read2_b64 v[76:79], v43 offset0:192 offset1:224
	ds_read2_b64 v[80:83], v49 offset1:32
	ds_read2_b64 v[84:87], v49 offset0:64 offset1:96
	ds_read2_b64 v[88:91], v49 offset0:128 offset1:160
	;; [unrolled: 1-line block ×3, first 2 shown]
	ds_read2_b64 v[96:99], v50 offset1:32
	ds_read2_b64 v[100:103], v50 offset0:64 offset1:96
	ds_read2_b64 v[104:107], v50 offset0:128 offset1:160
	s_waitcnt lgkmcnt(12)
	v_mul_u32_u24_sdwa v117, v52, v48 dst_sel:DWORD dst_unused:UNUSED_PAD src0_sel:WORD_0 src1_sel:DWORD
	v_mul_u32_u24_sdwa v52, v52, v48 dst_sel:DWORD dst_unused:UNUSED_PAD src0_sel:WORD_1 src1_sel:DWORD
	v_mul_u32_u24_sdwa v118, v53, v48 dst_sel:DWORD dst_unused:UNUSED_PAD src0_sel:WORD_1 src1_sel:DWORD
	v_mul_u32_u24_sdwa v119, v54, v48 dst_sel:DWORD dst_unused:UNUSED_PAD src0_sel:WORD_0 src1_sel:DWORD
	v_mul_u32_u24_sdwa v120, v54, v48 dst_sel:DWORD dst_unused:UNUSED_PAD src0_sel:WORD_1 src1_sel:DWORD
	s_waitcnt lgkmcnt(11)
	v_pk_fma_f16 v114, v56, v117, v114
	v_pk_fma_f16 v27, v56, v52, v27
	v_pk_fma_f16 v21, v57, v117, v21
	v_pk_fma_f16 v22, v57, v52, v22
	v_pk_fma_f16 v72, v58, v117, v72
	v_pk_fma_f16 v74, v59, v117, v74
	s_waitcnt lgkmcnt(10)
	v_pk_fma_f16 v109, v60, v117, v109
	v_pk_fma_f16 v28, v61, v117, v28
	;; [unrolled: 1-line block ×4, first 2 shown]
	v_mul_u32_u24_sdwa v117, v53, v48 dst_sel:DWORD dst_unused:UNUSED_PAD src0_sel:WORD_0 src1_sel:DWORD
	v_pk_fma_f16 v73, v58, v52, v73
	v_pk_fma_f16 v108, v59, v52, v108
	;; [unrolled: 1-line block ×6, first 2 shown]
	s_waitcnt lgkmcnt(8)
	v_pk_fma_f16 v114, v68, v117, v114
	v_pk_fma_f16 v27, v68, v118, v27
	;; [unrolled: 1-line block ×8, first 2 shown]
	s_waitcnt lgkmcnt(7)
	v_pk_fma_f16 v109, v76, v117, v109
	v_pk_fma_f16 v110, v76, v118, v110
	;; [unrolled: 1-line block ×8, first 2 shown]
	v_mul_u32_u24_sdwa v121, v55, v48 dst_sel:DWORD dst_unused:UNUSED_PAD src0_sel:WORD_0 src1_sel:DWORD
	v_mul_u32_u24_sdwa v122, v55, v48 dst_sel:DWORD dst_unused:UNUSED_PAD src0_sel:WORD_1 src1_sel:DWORD
	s_waitcnt lgkmcnt(6)
	v_pk_fma_f16 v114, v80, v119, v114
	v_pk_fma_f16 v27, v80, v120, v27
	;; [unrolled: 1-line block ×4, first 2 shown]
	ds_read2_b64 v[56:59], v50 offset0:192 offset1:224
	ds_read2_b64 v[52:55], v51 offset1:32
	ds_read2_b64 v[60:63], v51 offset0:64 offset1:96
	ds_read2_b64 v[68:71], v51 offset0:128 offset1:160
	v_pk_fma_f16 v72, v82, v119, v72
	v_pk_fma_f16 v73, v82, v120, v73
	;; [unrolled: 1-line block ×4, first 2 shown]
	ds_read2_b64 v[76:79], v51 offset0:192 offset1:224
	s_waitcnt lgkmcnt(0)
	s_barrier
	buffer_gl0_inv
	v_mul_u32_u24_sdwa v81, v64, v48 dst_sel:DWORD dst_unused:UNUSED_PAD src0_sel:WORD_0 src1_sel:DWORD
	v_mul_u32_u24_sdwa v82, v64, v48 dst_sel:DWORD dst_unused:UNUSED_PAD src0_sel:WORD_1 src1_sel:DWORD
	v_pk_fma_f16 v83, v84, v119, v109
	v_pk_fma_f16 v28, v85, v119, v28
	;; [unrolled: 1-line block ×4, first 2 shown]
	v_mul_u32_u24_sdwa v112, v65, v48 dst_sel:DWORD dst_unused:UNUSED_PAD src0_sel:WORD_0 src1_sel:DWORD
	v_pk_fma_f16 v84, v84, v120, v110
	v_pk_fma_f16 v85, v85, v120, v111
	;; [unrolled: 1-line block ×4, first 2 shown]
	v_mul_u32_u24_sdwa v110, v65, v48 dst_sel:DWORD dst_unused:UNUSED_PAD src0_sel:WORD_1 src1_sel:DWORD
	v_mul_u32_u24_sdwa v111, v66, v48 dst_sel:DWORD dst_unused:UNUSED_PAD src0_sel:WORD_0 src1_sel:DWORD
	v_mul_u32_u24_sdwa v113, v66, v48 dst_sel:DWORD dst_unused:UNUSED_PAD src0_sel:WORD_1 src1_sel:DWORD
	v_mul_u32_u24_sdwa v115, v67, v48 dst_sel:DWORD dst_unused:UNUSED_PAD src0_sel:WORD_0 src1_sel:DWORD
	v_mul_u32_u24_sdwa v116, v67, v48 dst_sel:DWORD dst_unused:UNUSED_PAD src0_sel:WORD_1 src1_sel:DWORD
	global_load_dwordx4 v[64:67], v[19:20], off
	v_pk_fma_f16 v114, v88, v121, v114
	v_pk_fma_f16 v27, v88, v122, v27
	;; [unrolled: 1-line block ×4, first 2 shown]
	global_load_dwordx4 v[19:22], v[19:20], off offset:512
	v_pk_fma_f16 v72, v90, v121, v72
	v_pk_fma_f16 v73, v90, v122, v73
	;; [unrolled: 1-line block ×76, first 2 shown]
	s_waitcnt vmcnt(1)
	ds_write_b128 v41, v[64:67]
	s_waitcnt vmcnt(0)
	ds_write_b128 v42, v[19:22]
	s_waitcnt lgkmcnt(0)
	s_barrier
	buffer_gl0_inv
	ds_read_b128 v[19:22], v1 offset:64
	ds_read2_b64 v[52:55], v43 offset1:32
	ds_read2_b64 v[56:59], v43 offset0:64 offset1:96
	ds_read_b128 v[60:63], v1 offset:80
	ds_read2_b64 v[64:67], v43 offset0:128 offset1:160
	ds_read2_b64 v[68:71], v43 offset0:192 offset1:224
	ds_read2_b64 v[76:79], v49 offset1:32
	ds_read2_b64 v[80:83], v49 offset0:64 offset1:96
	ds_read2_b64 v[84:87], v49 offset0:128 offset1:160
	;; [unrolled: 1-line block ×3, first 2 shown]
	ds_read2_b64 v[92:95], v50 offset1:32
	ds_read2_b64 v[96:99], v50 offset0:64 offset1:96
	s_waitcnt lgkmcnt(11)
	v_mul_u32_u24_sdwa v111, v19, v48 dst_sel:DWORD dst_unused:UNUSED_PAD src0_sel:WORD_0 src1_sel:DWORD
	v_mul_u32_u24_sdwa v112, v19, v48 dst_sel:DWORD dst_unused:UNUSED_PAD src0_sel:WORD_1 src1_sel:DWORD
	v_mul_u32_u24_sdwa v113, v20, v48 dst_sel:DWORD dst_unused:UNUSED_PAD src0_sel:WORD_0 src1_sel:DWORD
	v_mul_u32_u24_sdwa v114, v20, v48 dst_sel:DWORD dst_unused:UNUSED_PAD src0_sel:WORD_1 src1_sel:DWORD
	v_mul_u32_u24_sdwa v115, v21, v48 dst_sel:DWORD dst_unused:UNUSED_PAD src0_sel:WORD_0 src1_sel:DWORD
	s_waitcnt lgkmcnt(10)
	v_pk_fma_f16 v100, v52, v111, v100
	v_pk_fma_f16 v27, v52, v112, v27
	v_pk_fma_f16 v101, v53, v111, v101
	v_pk_fma_f16 v102, v53, v112, v102
	v_pk_fma_f16 v72, v54, v111, v72
	v_pk_fma_f16 v103, v54, v112, v103
	v_pk_fma_f16 v73, v55, v111, v73
	v_pk_fma_f16 v104, v55, v112, v104
	s_waitcnt lgkmcnt(9)
	v_pk_fma_f16 v74, v56, v111, v74
	v_pk_fma_f16 v105, v56, v112, v105
	;; [unrolled: 1-line block ×8, first 2 shown]
	v_mul_u32_u24_sdwa v116, v21, v48 dst_sel:DWORD dst_unused:UNUSED_PAD src0_sel:WORD_1 src1_sel:DWORD
	s_waitcnt lgkmcnt(7)
	v_pk_fma_f16 v100, v64, v113, v100
	v_pk_fma_f16 v27, v64, v114, v27
	;; [unrolled: 1-line block ×8, first 2 shown]
	s_waitcnt lgkmcnt(6)
	v_pk_fma_f16 v74, v68, v113, v74
	v_pk_fma_f16 v28, v69, v113, v28
	;; [unrolled: 1-line block ×8, first 2 shown]
	v_mul_u32_u24_sdwa v117, v22, v48 dst_sel:DWORD dst_unused:UNUSED_PAD src0_sel:WORD_0 src1_sel:DWORD
	v_mul_u32_u24_sdwa v118, v22, v48 dst_sel:DWORD dst_unused:UNUSED_PAD src0_sel:WORD_1 src1_sel:DWORD
	ds_read2_b64 v[19:22], v50 offset0:128 offset1:160
	ds_read2_b64 v[52:55], v50 offset0:192 offset1:224
	ds_read2_b64 v[56:59], v51 offset1:32
	ds_read2_b64 v[64:67], v51 offset0:64 offset1:96
	v_mul_u32_u24_sdwa v111, v60, v48 dst_sel:DWORD dst_unused:UNUSED_PAD src0_sel:WORD_0 src1_sel:DWORD
	v_mul_u32_u24_sdwa v112, v60, v48 dst_sel:DWORD dst_unused:UNUSED_PAD src0_sel:WORD_1 src1_sel:DWORD
	v_mul_u32_u24_sdwa v113, v61, v48 dst_sel:DWORD dst_unused:UNUSED_PAD src0_sel:WORD_0 src1_sel:DWORD
	v_mul_u32_u24_sdwa v114, v61, v48 dst_sel:DWORD dst_unused:UNUSED_PAD src0_sel:WORD_1 src1_sel:DWORD
	v_mul_u32_u24_sdwa v119, v62, v48 dst_sel:DWORD dst_unused:UNUSED_PAD src0_sel:WORD_0 src1_sel:DWORD
	v_mul_u32_u24_sdwa v120, v62, v48 dst_sel:DWORD dst_unused:UNUSED_PAD src0_sel:WORD_1 src1_sel:DWORD
	v_mul_u32_u24_sdwa v121, v63, v48 dst_sel:DWORD dst_unused:UNUSED_PAD src0_sel:WORD_0 src1_sel:DWORD
	v_mul_u32_u24_sdwa v122, v63, v48 dst_sel:DWORD dst_unused:UNUSED_PAD src0_sel:WORD_1 src1_sel:DWORD
	ds_read2_b64 v[60:63], v51 offset0:128 offset1:160
	s_waitcnt lgkmcnt(10)
	v_pk_fma_f16 v100, v76, v115, v100
	v_pk_fma_f16 v27, v76, v116, v27
	;; [unrolled: 1-line block ×8, first 2 shown]
	ds_read2_b64 v[68:71], v51 offset0:192 offset1:224
	s_waitcnt lgkmcnt(0)
	s_barrier
	buffer_gl0_inv
	v_pk_fma_f16 v74, v80, v115, v74
	v_pk_fma_f16 v105, v80, v116, v105
	;; [unrolled: 1-line block ×8, first 2 shown]
	s_clause 0x1
	global_load_dwordx4 v[76:79], v[17:18], off
	global_load_dwordx4 v[80:83], v[17:18], off offset:512
	v_pk_fma_f16 v17, v84, v117, v100
	v_pk_fma_f16 v18, v84, v118, v27
	;; [unrolled: 1-line block ×80, first 2 shown]
	s_waitcnt vmcnt(1)
	ds_write_b128 v41, v[76:79]
	s_waitcnt vmcnt(0)
	ds_write_b128 v42, v[80:83]
	s_waitcnt lgkmcnt(0)
	s_barrier
	buffer_gl0_inv
	ds_read_b128 v[17:20], v1 offset:96
	ds_read2_b64 v[52:55], v43 offset1:32
	ds_read2_b64 v[56:59], v43 offset0:64 offset1:96
	ds_read_b128 v[60:63], v1 offset:112
	ds_read2_b64 v[64:67], v43 offset0:128 offset1:160
	ds_read2_b64 v[68:71], v43 offset0:192 offset1:224
	ds_read2_b64 v[76:79], v49 offset1:32
	ds_read2_b64 v[80:83], v49 offset0:64 offset1:96
	ds_read2_b64 v[84:87], v49 offset0:128 offset1:160
	;; [unrolled: 1-line block ×3, first 2 shown]
	ds_read2_b64 v[92:95], v50 offset1:32
	ds_read2_b64 v[96:99], v50 offset0:64 offset1:96
	ds_read2_b64 v[100:103], v50 offset0:128 offset1:160
	;; [unrolled: 1-line block ×3, first 2 shown]
	s_waitcnt lgkmcnt(13)
	v_mul_u32_u24_sdwa v117, v17, v48 dst_sel:DWORD dst_unused:UNUSED_PAD src0_sel:WORD_0 src1_sel:DWORD
	v_mul_u32_u24_sdwa v17, v17, v48 dst_sel:DWORD dst_unused:UNUSED_PAD src0_sel:WORD_1 src1_sel:DWORD
	v_mul_u32_u24_sdwa v118, v18, v48 dst_sel:DWORD dst_unused:UNUSED_PAD src0_sel:WORD_1 src1_sel:DWORD
	v_mul_u32_u24_sdwa v119, v19, v48 dst_sel:DWORD dst_unused:UNUSED_PAD src0_sel:WORD_0 src1_sel:DWORD
	v_mul_u32_u24_sdwa v120, v19, v48 dst_sel:DWORD dst_unused:UNUSED_PAD src0_sel:WORD_1 src1_sel:DWORD
	s_waitcnt lgkmcnt(12)
	v_pk_fma_f16 v72, v52, v117, v72
	v_pk_fma_f16 v73, v52, v17, v73
	;; [unrolled: 1-line block ×8, first 2 shown]
	s_waitcnt lgkmcnt(11)
	v_pk_fma_f16 v110, v56, v117, v110
	v_pk_fma_f16 v28, v57, v117, v28
	;; [unrolled: 1-line block ×4, first 2 shown]
	v_mul_u32_u24_sdwa v117, v18, v48 dst_sel:DWORD dst_unused:UNUSED_PAD src0_sel:WORD_0 src1_sel:DWORD
	v_pk_fma_f16 v111, v56, v17, v111
	v_pk_fma_f16 v112, v57, v17, v112
	;; [unrolled: 1-line block ×4, first 2 shown]
	s_waitcnt lgkmcnt(9)
	v_pk_fma_f16 v72, v64, v117, v72
	v_pk_fma_f16 v73, v64, v118, v73
	;; [unrolled: 1-line block ×8, first 2 shown]
	s_waitcnt lgkmcnt(8)
	v_pk_fma_f16 v110, v68, v117, v110
	v_pk_fma_f16 v111, v68, v118, v111
	;; [unrolled: 1-line block ×8, first 2 shown]
	ds_read2_b64 v[52:55], v51 offset1:32
	v_mul_u32_u24_sdwa v121, v20, v48 dst_sel:DWORD dst_unused:UNUSED_PAD src0_sel:WORD_0 src1_sel:DWORD
	v_mul_u32_u24_sdwa v122, v20, v48 dst_sel:DWORD dst_unused:UNUSED_PAD src0_sel:WORD_1 src1_sel:DWORD
	ds_read2_b64 v[17:20], v51 offset0:64 offset1:96
	ds_read2_b64 v[56:59], v51 offset0:128 offset1:160
	ds_read2_b64 v[64:67], v51 offset0:192 offset1:224
	s_waitcnt lgkmcnt(0)
	s_barrier
	buffer_gl0_inv
	global_load_dwordx4 v[68:71], v[15:16], off
	v_pk_fma_f16 v72, v76, v119, v72
	v_pk_fma_f16 v73, v76, v120, v73
	;; [unrolled: 1-line block ×8, first 2 shown]
	v_mul_u32_u24_sdwa v78, v60, v48 dst_sel:DWORD dst_unused:UNUSED_PAD src0_sel:WORD_0 src1_sel:DWORD
	v_mul_u32_u24_sdwa v79, v60, v48 dst_sel:DWORD dst_unused:UNUSED_PAD src0_sel:WORD_1 src1_sel:DWORD
	v_pk_fma_f16 v108, v80, v119, v110
	v_pk_fma_f16 v28, v81, v119, v28
	;; [unrolled: 1-line block ×4, first 2 shown]
	v_mul_u32_u24_sdwa v113, v61, v48 dst_sel:DWORD dst_unused:UNUSED_PAD src0_sel:WORD_0 src1_sel:DWORD
	v_pk_fma_f16 v80, v80, v120, v111
	v_pk_fma_f16 v81, v81, v120, v112
	v_pk_fma_f16 v82, v82, v120, v114
	v_pk_fma_f16 v83, v83, v120, v116
	v_mul_u32_u24_sdwa v111, v61, v48 dst_sel:DWORD dst_unused:UNUSED_PAD src0_sel:WORD_1 src1_sel:DWORD
	v_mul_u32_u24_sdwa v112, v62, v48 dst_sel:DWORD dst_unused:UNUSED_PAD src0_sel:WORD_0 src1_sel:DWORD
	v_mul_u32_u24_sdwa v114, v62, v48 dst_sel:DWORD dst_unused:UNUSED_PAD src0_sel:WORD_1 src1_sel:DWORD
	v_mul_u32_u24_sdwa v115, v63, v48 dst_sel:DWORD dst_unused:UNUSED_PAD src0_sel:WORD_0 src1_sel:DWORD
	v_mul_u32_u24_sdwa v116, v63, v48 dst_sel:DWORD dst_unused:UNUSED_PAD src0_sel:WORD_1 src1_sel:DWORD
	global_load_dwordx4 v[60:63], v[15:16], off offset:512
	v_pk_fma_f16 v15, v84, v121, v72
	v_pk_fma_f16 v16, v84, v122, v73
	;; [unrolled: 1-line block ×80, first 2 shown]
	s_waitcnt vmcnt(1)
	ds_write_b128 v41, v[68:71]
	s_waitcnt vmcnt(0)
	ds_write_b128 v42, v[60:63]
	s_waitcnt lgkmcnt(0)
	s_barrier
	buffer_gl0_inv
	ds_read_b128 v[15:18], v1 offset:128
	ds_read2_b64 v[19:22], v43 offset1:32
	ds_read2_b64 v[52:55], v43 offset0:64 offset1:96
	ds_read_b128 v[56:59], v1 offset:144
	ds_read2_b64 v[60:63], v43 offset0:128 offset1:160
	ds_read2_b64 v[64:67], v43 offset0:192 offset1:224
	ds_read2_b64 v[68:71], v49 offset1:32
	ds_read2_b64 v[76:79], v49 offset0:64 offset1:96
	ds_read2_b64 v[80:83], v49 offset0:128 offset1:160
	;; [unrolled: 1-line block ×3, first 2 shown]
	ds_read2_b64 v[88:91], v50 offset1:32
	ds_read2_b64 v[92:95], v50 offset0:64 offset1:96
	ds_read2_b64 v[96:99], v50 offset0:128 offset1:160
	;; [unrolled: 1-line block ×3, first 2 shown]
	s_waitcnt lgkmcnt(13)
	v_mul_u32_u24_sdwa v115, v15, v48 dst_sel:DWORD dst_unused:UNUSED_PAD src0_sel:WORD_0 src1_sel:DWORD
	v_mul_u32_u24_sdwa v15, v15, v48 dst_sel:DWORD dst_unused:UNUSED_PAD src0_sel:WORD_1 src1_sel:DWORD
	v_mul_u32_u24_sdwa v116, v17, v48 dst_sel:DWORD dst_unused:UNUSED_PAD src0_sel:WORD_1 src1_sel:DWORD
	v_mul_u32_u24_sdwa v117, v18, v48 dst_sel:DWORD dst_unused:UNUSED_PAD src0_sel:WORD_0 src1_sel:DWORD
	v_mul_u32_u24_sdwa v118, v18, v48 dst_sel:DWORD dst_unused:UNUSED_PAD src0_sel:WORD_1 src1_sel:DWORD
	s_waitcnt lgkmcnt(12)
	v_pk_fma_f16 v74, v19, v115, v74
	v_pk_fma_f16 v104, v19, v15, v104
	;; [unrolled: 1-line block ×8, first 2 shown]
	s_waitcnt lgkmcnt(11)
	v_pk_fma_f16 v111, v52, v15, v111
	v_pk_fma_f16 v112, v53, v15, v112
	;; [unrolled: 1-line block ×4, first 2 shown]
	v_mul_u32_u24_sdwa v114, v16, v48 dst_sel:DWORD dst_unused:UNUSED_PAD src0_sel:WORD_0 src1_sel:DWORD
	v_mul_u32_u24_sdwa v16, v16, v48 dst_sel:DWORD dst_unused:UNUSED_PAD src0_sel:WORD_1 src1_sel:DWORD
	v_pk_fma_f16 v110, v52, v115, v110
	v_pk_fma_f16 v28, v53, v115, v28
	;; [unrolled: 1-line block ×4, first 2 shown]
	s_waitcnt lgkmcnt(9)
	v_pk_fma_f16 v74, v60, v114, v74
	v_pk_fma_f16 v104, v60, v16, v104
	;; [unrolled: 1-line block ×8, first 2 shown]
	v_mul_u32_u24_sdwa v115, v17, v48 dst_sel:DWORD dst_unused:UNUSED_PAD src0_sel:WORD_0 src1_sel:DWORD
	ds_read2_b64 v[19:22], v51 offset1:32
	ds_read2_b64 v[52:55], v51 offset0:64 offset1:96
	ds_read2_b64 v[60:63], v51 offset0:128 offset1:160
	s_waitcnt lgkmcnt(11)
	v_pk_fma_f16 v110, v64, v114, v110
	v_pk_fma_f16 v28, v65, v114, v28
	;; [unrolled: 1-line block ×8, first 2 shown]
	ds_read2_b64 v[64:67], v51 offset0:192 offset1:224
	s_waitcnt lgkmcnt(0)
	s_barrier
	buffer_gl0_inv
	global_load_dwordx4 v[15:18], v[11:12], off
	v_pk_fma_f16 v74, v68, v115, v74
	v_pk_fma_f16 v104, v68, v116, v104
	;; [unrolled: 1-line block ×8, first 2 shown]
	global_load_dwordx4 v[68:71], v[11:12], off offset:512
	v_mul_u32_u24_sdwa v11, v56, v48 dst_sel:DWORD dst_unused:UNUSED_PAD src0_sel:WORD_0 src1_sel:DWORD
	v_mul_u32_u24_sdwa v12, v56, v48 dst_sel:DWORD dst_unused:UNUSED_PAD src0_sel:WORD_1 src1_sel:DWORD
	v_pk_fma_f16 v56, v76, v115, v110
	v_pk_fma_f16 v28, v77, v115, v28
	;; [unrolled: 1-line block ×24, first 2 shown]
	v_mul_u32_u24_sdwa v110, v57, v48 dst_sel:DWORD dst_unused:UNUSED_PAD src0_sel:WORD_0 src1_sel:DWORD
	v_mul_u32_u24_sdwa v57, v57, v48 dst_sel:DWORD dst_unused:UNUSED_PAD src0_sel:WORD_1 src1_sel:DWORD
	v_pk_fma_f16 v74, v88, v11, v74
	v_pk_fma_f16 v80, v88, v12, v80
	v_pk_fma_f16 v84, v89, v11, v104
	v_pk_fma_f16 v81, v89, v12, v81
	v_pk_fma_f16 v27, v90, v11, v27
	v_pk_fma_f16 v82, v90, v12, v82
	v_pk_fma_f16 v85, v91, v11, v105
	v_pk_fma_f16 v83, v91, v12, v83
	v_pk_fma_f16 v56, v92, v11, v56
	v_pk_fma_f16 v76, v92, v12, v76
	v_pk_fma_f16 v28, v93, v11, v28
	v_pk_fma_f16 v77, v93, v12, v77
	v_pk_fma_f16 v72, v94, v11, v72
	v_pk_fma_f16 v78, v94, v12, v78
	v_pk_fma_f16 v11, v95, v11, v73
	v_pk_fma_f16 v12, v95, v12, v79
	v_mul_u32_u24_sdwa v111, v58, v48 dst_sel:DWORD dst_unused:UNUSED_PAD src0_sel:WORD_0 src1_sel:DWORD
	v_mul_u32_u24_sdwa v58, v58, v48 dst_sel:DWORD dst_unused:UNUSED_PAD src0_sel:WORD_1 src1_sel:DWORD
	v_pk_fma_f16 v73, v96, v110, v74
	v_pk_fma_f16 v74, v96, v57, v80
	v_pk_fma_f16 v79, v97, v110, v84
	v_pk_fma_f16 v80, v97, v57, v81
	v_pk_fma_f16 v27, v98, v110, v27
	v_pk_fma_f16 v81, v98, v57, v82
	v_pk_fma_f16 v82, v99, v110, v85
	v_pk_fma_f16 v83, v99, v57, v83
	v_pk_fma_f16 v56, v100, v110, v56
	v_pk_fma_f16 v76, v100, v57, v76
	v_pk_fma_f16 v28, v101, v110, v28
	v_pk_fma_f16 v77, v101, v57, v77
	v_pk_fma_f16 v72, v102, v110, v72
	v_pk_fma_f16 v78, v102, v57, v78
	v_pk_fma_f16 v11, v103, v110, v11
	v_pk_fma_f16 v12, v103, v57, v12
	;; [unrolled: 18-line block ×3, first 2 shown]
	v_pk_fma_f16 v108, v60, v112, v57
	v_pk_fma_f16 v109, v60, v59, v19
	;; [unrolled: 1-line block ×16, first 2 shown]
	s_waitcnt vmcnt(1)
	ds_write_b128 v41, v[15:18]
	s_waitcnt vmcnt(0)
	ds_write_b128 v42, v[68:71]
	s_waitcnt lgkmcnt(0)
	s_barrier
	buffer_gl0_inv
	ds_read_b128 v[15:18], v1 offset:160
	ds_read2_b64 v[19:22], v43 offset1:32
	ds_read2_b64 v[52:55], v43 offset0:64 offset1:96
	ds_read_b128 v[56:59], v1 offset:176
	ds_read2_b64 v[60:63], v43 offset0:128 offset1:160
	ds_read2_b64 v[64:67], v43 offset0:192 offset1:224
	ds_read2_b64 v[68:71], v49 offset1:32
	ds_read2_b64 v[76:79], v49 offset0:64 offset1:96
	ds_read2_b64 v[80:83], v49 offset0:128 offset1:160
	;; [unrolled: 1-line block ×3, first 2 shown]
	ds_read2_b64 v[88:91], v50 offset1:32
	ds_read2_b64 v[92:95], v50 offset0:64 offset1:96
	ds_read2_b64 v[96:99], v50 offset0:128 offset1:160
	;; [unrolled: 1-line block ×3, first 2 shown]
	ds_read2_b64 v[104:107], v51 offset1:32
	s_waitcnt lgkmcnt(14)
	v_mul_u32_u24_sdwa v112, v15, v48 dst_sel:DWORD dst_unused:UNUSED_PAD src0_sel:WORD_0 src1_sel:DWORD
	v_mul_u32_u24_sdwa v15, v15, v48 dst_sel:DWORD dst_unused:UNUSED_PAD src0_sel:WORD_1 src1_sel:DWORD
	s_waitcnt lgkmcnt(13)
	v_pk_fma_f16 v108, v19, v112, v108
	v_pk_fma_f16 v109, v19, v15, v109
	;; [unrolled: 1-line block ×8, first 2 shown]
	s_waitcnt lgkmcnt(12)
	v_pk_fma_f16 v114, v52, v112, v114
	v_pk_fma_f16 v28, v53, v112, v28
	;; [unrolled: 1-line block ×8, first 2 shown]
	v_mul_u32_u24_sdwa v15, v16, v48 dst_sel:DWORD dst_unused:UNUSED_PAD src0_sel:WORD_0 src1_sel:DWORD
	v_mul_u32_u24_sdwa v16, v16, v48 dst_sel:DWORD dst_unused:UNUSED_PAD src0_sel:WORD_1 src1_sel:DWORD
	ds_read2_b64 v[19:22], v51 offset0:64 offset1:96
	ds_read2_b64 v[52:55], v51 offset0:128 offset1:160
	s_waitcnt lgkmcnt(12)
	v_pk_fma_f16 v117, v60, v15, v108
	v_pk_fma_f16 v118, v60, v16, v109
	;; [unrolled: 1-line block ×8, first 2 shown]
	ds_read2_b64 v[60:63], v51 offset0:192 offset1:224
	s_waitcnt lgkmcnt(0)
	s_barrier
	buffer_gl0_inv
	v_pk_fma_f16 v114, v64, v15, v114
	v_pk_fma_f16 v28, v65, v15, v28
	;; [unrolled: 1-line block ×8, first 2 shown]
	s_clause 0x1
	global_load_dwordx4 v[64:67], v[9:10], off
	global_load_dwordx4 v[108:111], v[9:10], off offset:512
	v_add_f32_e32 v10, v24, v26
	v_mul_u32_u24_sdwa v16, v17, v48 dst_sel:DWORD dst_unused:UNUSED_PAD src0_sel:WORD_0 src1_sel:DWORD
	v_mul_u32_u24_sdwa v17, v17, v48 dst_sel:DWORD dst_unused:UNUSED_PAD src0_sel:WORD_1 src1_sel:DWORD
	v_mul_u32_u24_sdwa v24, v18, v48 dst_sel:DWORD dst_unused:UNUSED_PAD src0_sel:WORD_0 src1_sel:DWORD
	v_mul_u32_u24_sdwa v18, v18, v48 dst_sel:DWORD dst_unused:UNUSED_PAD src0_sel:WORD_1 src1_sel:DWORD
	v_fmac_f32_e32 v10, v75, v25
	v_pk_fma_f16 v75, v68, v16, v117
	v_pk_fma_f16 v68, v68, v17, v118
	v_pk_fma_f16 v73, v69, v16, v73
	v_pk_fma_f16 v69, v69, v17, v119
	v_pk_fma_f16 v27, v70, v16, v27
	v_pk_fma_f16 v70, v70, v17, v120
	v_pk_fma_f16 v74, v71, v16, v74
	v_pk_fma_f16 v71, v71, v17, v113
	v_pk_fma_f16 v114, v76, v16, v114
	v_pk_fma_f16 v15, v76, v17, v15
	v_pk_fma_f16 v28, v77, v16, v28
	v_pk_fma_f16 v76, v77, v17, v112
	v_pk_fma_f16 v72, v78, v16, v72
	v_pk_fma_f16 v77, v78, v17, v115
	v_pk_fma_f16 v11, v79, v16, v11
	v_pk_fma_f16 v12, v79, v17, v12
	v_mul_u32_u24_sdwa v25, v56, v48 dst_sel:DWORD dst_unused:UNUSED_PAD src0_sel:WORD_0 src1_sel:DWORD
	v_mul_u32_u24_sdwa v26, v56, v48 dst_sel:DWORD dst_unused:UNUSED_PAD src0_sel:WORD_1 src1_sel:DWORD
	v_pk_fma_f16 v16, v80, v24, v75
	v_pk_fma_f16 v17, v80, v18, v68
	v_pk_fma_f16 v68, v81, v24, v73
	v_pk_fma_f16 v69, v81, v18, v69
	v_pk_fma_f16 v27, v82, v24, v27
	v_pk_fma_f16 v70, v82, v18, v70
	v_pk_fma_f16 v73, v83, v24, v74
	v_pk_fma_f16 v71, v83, v18, v71
	v_pk_fma_f16 v74, v84, v24, v114
	v_pk_fma_f16 v15, v84, v18, v15
	v_pk_fma_f16 v28, v85, v24, v28
	v_pk_fma_f16 v75, v85, v18, v76
	v_pk_fma_f16 v72, v86, v24, v72
	v_pk_fma_f16 v76, v86, v18, v77
	v_pk_fma_f16 v11, v87, v24, v11
	v_pk_fma_f16 v12, v87, v18, v12
	v_mul_u32_u24_sdwa v56, v57, v48 dst_sel:DWORD dst_unused:UNUSED_PAD src0_sel:WORD_0 src1_sel:DWORD
	v_mul_u32_u24_sdwa v57, v57, v48 dst_sel:DWORD dst_unused:UNUSED_PAD src0_sel:WORD_1 src1_sel:DWORD
	;; [unrolled: 18-line block ×4, first 2 shown]
	v_pk_fma_f16 v16, v104, v113, v16
	v_pk_fma_f16 v17, v104, v58, v17
	;; [unrolled: 1-line block ×32, first 2 shown]
	s_waitcnt vmcnt(1)
	ds_write_b128 v41, v[64:67]
	s_waitcnt vmcnt(0)
	ds_write_b128 v42, v[108:111]
	s_waitcnt lgkmcnt(0)
	s_barrier
	buffer_gl0_inv
	ds_read_b128 v[15:18], v1 offset:192
	ds_read2_b64 v[19:22], v43 offset1:32
	ds_read2_b64 v[24:27], v43 offset0:64 offset1:96
	ds_read_b128 v[52:55], v1 offset:208
	ds_read2_b64 v[56:59], v43 offset0:128 offset1:160
	ds_read2_b64 v[60:63], v43 offset0:192 offset1:224
	ds_read2_b64 v[64:67], v49 offset1:32
	ds_read2_b64 v[68:71], v49 offset0:64 offset1:96
	ds_read2_b64 v[72:75], v49 offset0:128 offset1:160
	ds_read2_b64 v[76:79], v49 offset0:192 offset1:224
	ds_read2_b64 v[80:83], v50 offset1:32
	ds_read2_b64 v[84:87], v50 offset0:64 offset1:96
	;; [unrolled: 4-line block ×3, first 2 shown]
	v_add_co_ci_u32_e64 v9, null, s19, v45, vcc_lo
	s_waitcnt lgkmcnt(15)
	v_mul_u32_u24_sdwa v108, v15, v48 dst_sel:DWORD dst_unused:UNUSED_PAD src0_sel:WORD_0 src1_sel:DWORD
	v_mul_u32_u24_sdwa v109, v15, v48 dst_sel:DWORD dst_unused:UNUSED_PAD src0_sel:WORD_1 src1_sel:DWORD
	v_mul_u32_u24_sdwa v110, v16, v48 dst_sel:DWORD dst_unused:UNUSED_PAD src0_sel:WORD_0 src1_sel:DWORD
	v_mul_u32_u24_sdwa v116, v17, v48 dst_sel:DWORD dst_unused:UNUSED_PAD src0_sel:WORD_0 src1_sel:DWORD
	v_mul_u32_u24_sdwa v122, v17, v48 dst_sel:DWORD dst_unused:UNUSED_PAD src0_sel:WORD_1 src1_sel:DWORD
	s_waitcnt lgkmcnt(14)
	v_pk_fma_f16 v104, v19, v108, v104
	v_pk_fma_f16 v105, v19, v109, v105
	;; [unrolled: 1-line block ×8, first 2 shown]
	v_mul_u32_u24_sdwa v115, v16, v48 dst_sel:DWORD dst_unused:UNUSED_PAD src0_sel:WORD_1 src1_sel:DWORD
	s_waitcnt lgkmcnt(13)
	v_pk_fma_f16 v117, v24, v108, v117
	v_pk_fma_f16 v119, v25, v108, v119
	v_pk_fma_f16 v28, v26, v108, v28
	v_pk_fma_f16 v11, v27, v108, v11
	v_pk_fma_f16 v108, v24, v109, v118
	v_pk_fma_f16 v118, v25, v109, v120
	v_pk_fma_f16 v120, v26, v109, v121
	v_pk_fma_f16 v12, v27, v109, v12
	v_mul_u32_u24_sdwa v123, v18, v48 dst_sel:DWORD dst_unused:UNUSED_PAD src0_sel:WORD_0 src1_sel:DWORD
	v_mul_u32_u24_sdwa v124, v18, v48 dst_sel:DWORD dst_unused:UNUSED_PAD src0_sel:WORD_1 src1_sel:DWORD
	ds_read2_b64 v[15:18], v51 offset0:128 offset1:160
	ds_read2_b64 v[19:22], v51 offset0:192 offset1:224
	s_waitcnt lgkmcnt(0)
	s_barrier
	buffer_gl0_inv
	global_load_dwordx4 v[24:27], v[8:9], off
	v_pk_fma_f16 v104, v56, v110, v104
	v_pk_fma_f16 v56, v56, v115, v105
	;; [unrolled: 1-line block ×8, first 2 shown]
	v_mul_u32_u24_sdwa v109, v52, v48 dst_sel:DWORD dst_unused:UNUSED_PAD src0_sel:WORD_0 src1_sel:DWORD
	v_pk_fma_f16 v111, v60, v110, v117
	v_pk_fma_f16 v112, v61, v110, v119
	;; [unrolled: 1-line block ×4, first 2 shown]
	v_mul_u32_u24_sdwa v110, v52, v48 dst_sel:DWORD dst_unused:UNUSED_PAD src0_sel:WORD_1 src1_sel:DWORD
	v_pk_fma_f16 v60, v60, v115, v108
	v_pk_fma_f16 v61, v61, v115, v118
	;; [unrolled: 1-line block ×4, first 2 shown]
	v_mul_u32_u24_sdwa v63, v53, v48 dst_sel:DWORD dst_unused:UNUSED_PAD src0_sel:WORD_0 src1_sel:DWORD
	v_mul_u32_u24_sdwa v108, v53, v48 dst_sel:DWORD dst_unused:UNUSED_PAD src0_sel:WORD_1 src1_sel:DWORD
	v_mul_u32_u24_sdwa v113, v54, v48 dst_sel:DWORD dst_unused:UNUSED_PAD src0_sel:WORD_0 src1_sel:DWORD
	v_mul_u32_u24_sdwa v114, v54, v48 dst_sel:DWORD dst_unused:UNUSED_PAD src0_sel:WORD_1 src1_sel:DWORD
	;; [unrolled: 2-line block ×3, first 2 shown]
	global_load_dwordx4 v[52:55], v[8:9], off offset:512
	v_pk_fma_f16 v8, v64, v116, v104
	v_pk_fma_f16 v9, v64, v122, v56
	;; [unrolled: 1-line block ×96, first 2 shown]
	s_waitcnt vmcnt(1)
	ds_write_b128 v41, v[24:27]
	s_waitcnt vmcnt(0)
	ds_write_b128 v42, v[52:55]
	s_waitcnt lgkmcnt(0)
	s_barrier
	buffer_gl0_inv
	ds_read_b128 v[15:18], v1 offset:224
	ds_read2_b64 v[19:22], v43 offset1:32
	ds_read2_b64 v[24:27], v43 offset0:64 offset1:96
	ds_read_b128 v[52:55], v1 offset:240
	ds_read2_b64 v[56:59], v43 offset0:128 offset1:160
	ds_read2_b64 v[60:63], v43 offset0:192 offset1:224
	ds_read2_b64 v[64:67], v49 offset1:32
	ds_read2_b64 v[68:71], v49 offset0:64 offset1:96
	ds_read2_b64 v[72:75], v49 offset0:128 offset1:160
	ds_read2_b64 v[76:79], v49 offset0:192 offset1:224
	ds_read2_b64 v[80:83], v50 offset1:32
	ds_read2_b64 v[84:87], v50 offset0:64 offset1:96
	ds_read2_b64 v[88:91], v50 offset0:128 offset1:160
	ds_read2_b64 v[92:95], v50 offset0:192 offset1:224
	ds_read2_b64 v[96:99], v51 offset1:32
	ds_read2_b64 v[100:103], v51 offset0:64 offset1:96
	s_waitcnt lgkmcnt(15)
	v_mul_u32_u24_sdwa v115, v15, v48 dst_sel:DWORD dst_unused:UNUSED_PAD src0_sel:WORD_0 src1_sel:DWORD
	v_mul_u32_u24_sdwa v15, v15, v48 dst_sel:DWORD dst_unused:UNUSED_PAD src0_sel:WORD_1 src1_sel:DWORD
	s_waitcnt lgkmcnt(14)
	v_pk_fma_f16 v8, v19, v115, v8
	v_pk_fma_f16 v9, v19, v15, v9
	;; [unrolled: 1-line block ×8, first 2 shown]
	s_waitcnt lgkmcnt(13)
	v_pk_fma_f16 v110, v24, v115, v110
	v_pk_fma_f16 v112, v25, v115, v112
	;; [unrolled: 1-line block ×8, first 2 shown]
	v_mul_u32_u24_sdwa v15, v16, v48 dst_sel:DWORD dst_unused:UNUSED_PAD src0_sel:WORD_0 src1_sel:DWORD
	v_mul_u32_u24_sdwa v16, v16, v48 dst_sel:DWORD dst_unused:UNUSED_PAD src0_sel:WORD_1 src1_sel:DWORD
	v_mul_u32_u24_sdwa v27, v17, v48 dst_sel:DWORD dst_unused:UNUSED_PAD src0_sel:WORD_0 src1_sel:DWORD
	v_mul_u32_u24_sdwa v17, v17, v48 dst_sel:DWORD dst_unused:UNUSED_PAD src0_sel:WORD_1 src1_sel:DWORD
	v_mul_u32_u24_sdwa v111, v18, v48 dst_sel:DWORD dst_unused:UNUSED_PAD src0_sel:WORD_0 src1_sel:DWORD
	s_waitcnt lgkmcnt(11)
	v_pk_fma_f16 v8, v56, v15, v8
	v_pk_fma_f16 v9, v56, v16, v9
	;; [unrolled: 1-line block ×8, first 2 shown]
	v_mul_u32_u24_sdwa v116, v55, v48 dst_sel:DWORD dst_unused:UNUSED_PAD src0_sel:WORD_0 src1_sel:DWORD
	v_mul_u32_u24_sdwa v117, v55, v48 dst_sel:DWORD dst_unused:UNUSED_PAD src0_sel:WORD_1 src1_sel:DWORD
	s_waitcnt lgkmcnt(10)
	v_pk_fma_f16 v55, v60, v15, v110
	v_pk_fma_f16 v24, v60, v16, v24
	;; [unrolled: 1-line block ×8, first 2 shown]
	v_mul_u32_u24_sdwa v18, v18, v48 dst_sel:DWORD dst_unused:UNUSED_PAD src0_sel:WORD_1 src1_sel:DWORD
	s_waitcnt lgkmcnt(9)
	v_pk_fma_f16 v8, v64, v27, v8
	v_pk_fma_f16 v9, v64, v17, v9
	;; [unrolled: 1-line block ×8, first 2 shown]
	s_waitcnt lgkmcnt(8)
	v_pk_fma_f16 v55, v68, v27, v55
	v_pk_fma_f16 v24, v68, v17, v24
	;; [unrolled: 1-line block ×8, first 2 shown]
	ds_read2_b64 v[19:22], v51 offset0:128 offset1:160
	ds_read2_b64 v[104:107], v51 offset0:192 offset1:224
	s_waitcnt lgkmcnt(0)
	s_barrier
	buffer_gl0_inv
	s_load_dword s0, s[14:15], 0x4
	v_mul_u32_u24_sdwa v113, v52, v48 dst_sel:DWORD dst_unused:UNUSED_PAD src0_sel:WORD_0 src1_sel:DWORD
	v_mul_u32_u24_sdwa v52, v52, v48 dst_sel:DWORD dst_unused:UNUSED_PAD src0_sel:WORD_1 src1_sel:DWORD
	v_pk_fma_f16 v8, v72, v111, v8
	v_pk_fma_f16 v9, v72, v18, v9
	v_pk_fma_f16 v15, v73, v111, v15
	v_pk_fma_f16 v16, v73, v18, v16
	v_pk_fma_f16 v17, v74, v111, v56
	v_pk_fma_f16 v27, v74, v18, v57
	v_pk_fma_f16 v56, v75, v111, v58
	v_pk_fma_f16 v57, v75, v18, v59
	v_pk_fma_f16 v55, v76, v111, v55
	v_pk_fma_f16 v24, v76, v18, v24
	v_pk_fma_f16 v58, v77, v111, v60
	v_pk_fma_f16 v25, v77, v18, v25
	v_pk_fma_f16 v28, v78, v111, v28
	v_pk_fma_f16 v26, v78, v18, v26
	v_pk_fma_f16 v11, v79, v111, v11
	v_pk_fma_f16 v12, v79, v18, v12
	v_mul_u32_u24_sdwa v114, v53, v48 dst_sel:DWORD dst_unused:UNUSED_PAD src0_sel:WORD_0 src1_sel:DWORD
	v_mul_u32_u24_sdwa v53, v53, v48 dst_sel:DWORD dst_unused:UNUSED_PAD src0_sel:WORD_1 src1_sel:DWORD
	v_pk_fma_f16 v8, v80, v113, v8
	v_pk_fma_f16 v9, v80, v52, v9
	v_pk_fma_f16 v15, v81, v113, v15
	v_pk_fma_f16 v16, v81, v52, v16
	v_pk_fma_f16 v17, v82, v113, v17
	v_pk_fma_f16 v18, v82, v52, v27
	v_pk_fma_f16 v27, v83, v113, v56
	v_pk_fma_f16 v56, v83, v52, v57
	v_pk_fma_f16 v55, v84, v113, v55
	v_pk_fma_f16 v24, v84, v52, v24
	v_pk_fma_f16 v57, v85, v113, v58
	v_pk_fma_f16 v25, v85, v52, v25
	v_pk_fma_f16 v28, v86, v113, v28
	v_pk_fma_f16 v26, v86, v52, v26
	v_pk_fma_f16 v11, v87, v113, v11
	v_pk_fma_f16 v12, v87, v52, v12
	;; [unrolled: 18-line block ×3, first 2 shown]
	v_pk_fma_f16 v8, v96, v109, v8
	v_pk_fma_f16 v9, v96, v54, v9
	;; [unrolled: 1-line block ×16, first 2 shown]
	s_waitcnt lgkmcnt(0)
	s_lshl_b32 s0, s0, 6
	v_pk_fma_f16 v62, v19, v116, v8
	v_pk_fma_f16 v55, v19, v117, v9
	;; [unrolled: 1-line block ×16, first 2 shown]
	s_add_i32 s24, s0, s24
	s_cmp_ge_i32 s24, s30
	s_cbranch_scc0 .LBB5_13
; %bb.14:
	v_mov_b32_e32 v3, 32
	v_mov_b32_e32 v4, v32
.LBB5_15:
	v_cmp_lt_i32_e32 vcc_lo, v37, v3
	s_cmp_lg_u64 s[16:17], 0
	s_cselect_b32 s0, -1, 0
	s_cmp_eq_u32 s28, 0
	v_cndmask_b32_e32 v1, v4, v37, vcc_lo
	v_cmp_lt_i32_e32 vcc_lo, v36, v3
	s_cselect_b32 s1, -1, 0
	s_and_b32 s0, s1, s0
	v_lshlrev_b32_e32 v1, 2, v1
	v_cndmask_b32_e32 v6, v4, v36, vcc_lo
	v_cmp_lt_i32_e32 vcc_lo, v35, v3
	ds_bpermute_b32 v5, v1, v23
	ds_bpermute_b32 v1, v1, v10
	v_lshlrev_b32_e32 v6, 2, v6
	v_cndmask_b32_e32 v8, v4, v35, vcc_lo
	v_cmp_lt_i32_e32 vcc_lo, v34, v3
	v_lshlrev_b32_e32 v8, 2, v8
	s_waitcnt lgkmcnt(1)
	v_add_f32_e32 v5, v23, v5
	s_waitcnt lgkmcnt(0)
	v_add_f32_e32 v1, v10, v1
	ds_bpermute_b32 v7, v6, v5
	ds_bpermute_b32 v6, v6, v1
	s_waitcnt lgkmcnt(1)
	v_add_f32_e32 v5, v5, v7
	s_waitcnt lgkmcnt(0)
	v_add_f32_e32 v1, v1, v6
	ds_bpermute_b32 v6, v8, v5
	ds_bpermute_b32 v7, v8, v1
	v_cndmask_b32_e32 v8, v4, v34, vcc_lo
	v_cmp_lt_i32_e32 vcc_lo, v33, v3
	v_lshlrev_b32_e32 v8, 2, v8
	v_cndmask_b32_e32 v3, v4, v33, vcc_lo
	s_and_b32 vcc_lo, exec_lo, s0
	s_mov_b32 s0, 0
	v_lshlrev_b32_e32 v3, 2, v3
	s_waitcnt lgkmcnt(1)
	v_add_f32_e32 v5, v5, v6
	s_waitcnt lgkmcnt(0)
	v_add_f32_e32 v1, v1, v7
	ds_bpermute_b32 v6, v8, v5
	ds_bpermute_b32 v7, v8, v1
	s_waitcnt lgkmcnt(1)
	v_add_f32_e32 v4, v5, v6
	s_waitcnt lgkmcnt(0)
	v_add_f32_e32 v1, v1, v7
	v_add_nc_u32_e32 v7, s33, v30
	ds_bpermute_b32 v5, v3, v4
	ds_bpermute_b32 v3, v3, v1
	s_waitcnt lgkmcnt(1)
	v_add_f32_e32 v5, v4, v5
	s_waitcnt lgkmcnt(0)
	v_add_f32_e32 v6, v1, v3
	s_cbranch_vccnz .LBB5_18
; %bb.16:
	v_mov_b32_e32 v3, v5
	v_add_nc_u32_e32 v1, s33, v30
	v_mov_b32_e32 v4, v6
	s_andn2_b32 vcc_lo, exec_lo, s0
	s_cbranch_vccz .LBB5_19
; %bb.17:
	v_mov_b32_e32 v7, v1
	s_branch .LBB5_20
.LBB5_18:
                                        ; implicit-def: $vgpr1
                                        ; implicit-def: $vgpr3_vgpr4
.LBB5_19:
	v_ashrrev_i32_e32 v8, 31, v7
	v_max_f32_e32 v1, v13, v13
	v_max_f32_e32 v9, v14, v14
	v_lshlrev_b64 v[3:4], 2, v[7:8]
	v_add_co_u32 v3, vcc_lo, s16, v3
	v_add_co_ci_u32_e64 v4, null, s17, v4, vcc_lo
	global_load_dwordx2 v[3:4], v[3:4], off
	s_waitcnt vmcnt(0)
	v_max_f32_e32 v8, v3, v3
	v_max_f32_e32 v10, v4, v4
	;; [unrolled: 1-line block ×4, first 2 shown]
	v_sub_f32_e32 v1, v13, v8
	v_sub_f32_e32 v3, v3, v8
	;; [unrolled: 1-line block ×4, first 2 shown]
	v_mul_f32_e32 v11, 0x3fb8aa3b, v1
	v_mul_f32_e32 v12, 0x3fb8aa3b, v3
	;; [unrolled: 1-line block ×4, first 2 shown]
	v_cmp_ngt_f32_e32 vcc_lo, 0xc2ce8ed0, v1
	v_fma_f32 v15, 0x3fb8aa3b, v1, -v11
	v_rndne_f32_e32 v16, v11
	v_fma_f32 v17, 0x3fb8aa3b, v3, -v12
	v_rndne_f32_e32 v18, v12
	v_fma_f32 v19, 0x3fb8aa3b, v10, -v13
	v_fmac_f32_e32 v15, 0x32a5705f, v1
	v_sub_f32_e32 v11, v11, v16
	v_rndne_f32_e32 v20, v13
	v_fmac_f32_e32 v17, 0x32a5705f, v3
	v_sub_f32_e32 v12, v12, v18
	v_fma_f32 v21, 0x3fb8aa3b, v4, -v14
	v_add_f32_e32 v11, v11, v15
	v_rndne_f32_e32 v22, v14
	v_fmac_f32_e32 v19, 0x32a5705f, v10
	v_sub_f32_e32 v13, v13, v20
	v_add_f32_e32 v12, v12, v17
	v_exp_f32_e32 v11, v11
	v_fmac_f32_e32 v21, 0x32a5705f, v4
	v_sub_f32_e32 v14, v14, v22
	v_add_f32_e32 v13, v13, v19
	v_exp_f32_e32 v12, v12
	v_cvt_i32_f32_e32 v15, v16
	v_cvt_i32_f32_e32 v16, v18
	v_add_f32_e32 v14, v14, v21
	v_exp_f32_e32 v13, v13
	v_cvt_i32_f32_e32 v17, v20
	v_ldexp_f32 v11, v11, v15
	v_cvt_i32_f32_e32 v18, v22
	v_exp_f32_e32 v14, v14
	v_mov_b32_e32 v19, 0x10001
	v_ldexp_f32 v12, v12, v16
	v_cndmask_b32_e32 v11, 0, v11, vcc_lo
	v_cmp_ngt_f32_e32 vcc_lo, 0xc2ce8ed0, v3
	v_ldexp_f32 v13, v13, v17
	v_cndmask_b32_e32 v12, 0, v12, vcc_lo
	v_cmp_ngt_f32_e32 vcc_lo, 0xc2ce8ed0, v10
	;; [unrolled: 3-line block ×3, first 2 shown]
	v_cndmask_b32_e32 v14, 0, v14, vcc_lo
	v_cmp_nlt_f32_e32 vcc_lo, 0x42b17218, v1
	v_cndmask_b32_e32 v1, 0x7f800000, v11, vcc_lo
	v_cmp_nlt_f32_e32 vcc_lo, 0x42b17218, v10
	v_cvt_f16_f32_e32 v11, v1
	v_cndmask_b32_e32 v10, 0x7f800000, v13, vcc_lo
	v_cmp_nlt_f32_e32 vcc_lo, 0x42b17218, v3
	v_cndmask_b32_e32 v3, 0x7f800000, v12, vcc_lo
	v_cmp_nlt_f32_e32 vcc_lo, 0x42b17218, v4
	v_cvt_f16_f32_e32 v12, v10
	v_fmac_f32_e32 v3, v5, v1
	v_cndmask_b32_e32 v4, 0x7f800000, v14, vcc_lo
	v_mul_u32_u24_sdwa v1, v11, v19 dst_sel:DWORD dst_unused:UNUSED_PAD src0_sel:WORD_0 src1_sel:DWORD
	v_mov_b32_e32 v14, v9
	v_mov_b32_e32 v13, v8
	;; [unrolled: 1-line block ×3, first 2 shown]
	v_fmac_f32_e32 v4, v6, v10
	v_mul_u32_u24_sdwa v6, v12, v19 dst_sel:DWORD dst_unused:UNUSED_PAD src0_sel:WORD_0 src1_sel:DWORD
	v_pk_mul_f16 v62, v62, v1
	v_pk_mul_f16 v67, v67, v1
	;; [unrolled: 1-line block ×16, first 2 shown]
	v_mov_b32_e32 v6, v4
.LBB5_20:
	s_load_dword s1, s[4:5], 0xd4
	v_mov_b32_e32 v8, 1.0
	s_waitcnt lgkmcnt(0)
	s_cmp_lg_u32 s1, 1
	s_cselect_b32 s3, -1, 0
	s_cmp_eq_u32 s1, 1
	s_cselect_b32 s2, -1, 0
	s_and_b32 vcc_lo, exec_lo, s3
	s_cbranch_vccnz .LBB5_22
; %bb.21:
	v_div_scale_f32 v1, null, v5, v5, 1.0
	v_rcp_f32_e32 v8, v1
	v_fma_f32 v9, -v1, v8, 1.0
	v_fmac_f32_e32 v8, v9, v8
	v_div_scale_f32 v9, vcc_lo, 1.0, v5, 1.0
	v_mul_f32_e32 v10, v9, v8
	v_fma_f32 v11, -v1, v10, v9
	v_fmac_f32_e32 v10, v11, v8
	v_fma_f32 v1, -v1, v10, v9
	v_div_fmas_f32 v1, v1, v8, v10
	v_div_fixup_f32 v8, v1, v5, 1.0
.LBB5_22:
	v_mad_u64_u32 v[1:2], null, s29, s26, v[2:3]
	v_cmp_eq_u32_e32 vcc_lo, 0, v0
	v_mov_b32_e32 v2, 0
	v_cvt_f32_f16_sdwa v16, v66 dst_sel:DWORD dst_unused:UNUSED_PAD src0_sel:WORD_1
	v_cvt_f32_f16_sdwa v19, v65 dst_sel:DWORD dst_unused:UNUSED_PAD src0_sel:WORD_1
	v_cvt_f32_f16_e32 v9, v67
	v_cvt_f32_f16_e32 v15, v62
	v_mad_u64_u32 v[0:1], null, v1, s27, v[7:8]
	v_cvt_f32_f16_e32 v23, v65
	v_mul_f32_e32 v18, v8, v16
	v_mul_f32_e32 v16, v8, v19
	v_mov_b32_e32 v20, v2
	v_mul_f32_e32 v11, v8, v9
	v_mul_f32_e32 v9, v8, v15
	v_mad_u64_u32 v[0:1], null, s1, v0, s[28:29]
	v_mul_f32_e32 v15, v8, v23
	v_mov_b32_e32 v24, v2
	v_cvt_f32_f16_sdwa v5, v67 dst_sel:DWORD dst_unused:UNUSED_PAD src0_sel:WORD_1
	v_cvt_f32_f16_sdwa v7, v62 dst_sel:DWORD dst_unused:UNUSED_PAD src0_sel:WORD_1
	v_cvt_f32_f16_e32 v17, v66
	v_cvt_f32_f16_sdwa v25, v64 dst_sel:DWORD dst_unused:UNUSED_PAD src0_sel:WORD_1
	v_lshl_add_u32 v1, v0, 9, v29
	v_mul_f32_e32 v12, v8, v5
	v_mul_f32_e32 v10, v8, v7
	v_cvt_f32_f16_sdwa v5, v63 dst_sel:DWORD dst_unused:UNUSED_PAD src0_sel:WORD_1
	v_cvt_f32_f16_e32 v7, v63
	v_add_nc_u32_e32 v19, 0x80, v1
	v_add_nc_u32_e32 v23, 0x100, v1
	v_lshlrev_b64 v[21:22], 2, v[1:2]
	v_add_nc_u32_e32 v1, 0x180, v1
	v_cvt_f32_f16_e32 v26, v64
	v_lshlrev_b64 v[19:20], 2, v[19:20]
	v_lshlrev_b64 v[23:24], 2, v[23:24]
	v_cvt_f32_f16_e32 v34, v60
	v_add_co_u32 v27, s0, s20, v21
	v_lshlrev_b64 v[1:2], 2, v[1:2]
	v_add_co_ci_u32_e64 v28, null, s21, v22, s0
	v_add_co_u32 v30, s0, s20, v19
	v_add_co_ci_u32_e64 v31, null, s21, v20, s0
	v_mul_f32_e32 v20, v8, v5
	v_mul_f32_e32 v19, v8, v7
	v_add_co_u32 v32, s0, s20, v23
	v_cvt_f32_f16_sdwa v5, v61 dst_sel:DWORD dst_unused:UNUSED_PAD src0_sel:WORD_1
	v_cvt_f32_f16_e32 v7, v61
	v_cvt_f32_f16_sdwa v23, v60 dst_sel:DWORD dst_unused:UNUSED_PAD src0_sel:WORD_1
	v_mul_f32_e32 v17, v8, v17
	v_add_co_ci_u32_e64 v33, null, s21, v24, s0
	v_add_co_u32 v1, s0, s20, v1
	v_mul_f32_e32 v22, v8, v25
	v_mul_f32_e32 v21, v8, v26
	;; [unrolled: 1-line block ×6, first 2 shown]
	v_add_co_ci_u32_e64 v2, null, s21, v2, s0
	s_and_b32 s0, vcc_lo, s3
	global_store_dwordx4 v[27:28], v[9:12], off
	global_store_dwordx4 v[30:31], v[15:18], off
	;; [unrolled: 1-line block ×4, first 2 shown]
	s_and_saveexec_b32 s3, s0
	s_cbranch_execz .LBB5_24
; %bb.23:
	v_ashrrev_i32_e32 v1, 31, v0
	v_mov_b32_e32 v7, v13
	v_mov_b32_e32 v8, v3
	v_lshlrev_b64 v[1:2], 3, v[0:1]
	v_add_co_u32 v1, vcc_lo, s22, v1
	v_add_co_ci_u32_e64 v2, null, s23, v2, vcc_lo
	global_store_dwordx2 v[1:2], v[7:8], off
.LBB5_24:
	s_or_b32 exec_lo, exec_lo, s3
	v_mov_b32_e32 v1, 1.0
	s_andn2_b32 vcc_lo, exec_lo, s2
	s_cbranch_vccnz .LBB5_26
; %bb.25:
	v_div_scale_f32 v1, null, v6, v6, 1.0
	v_rcp_f32_e32 v2, v1
	v_fma_f32 v3, -v1, v2, 1.0
	v_fmac_f32_e32 v2, v3, v2
	v_div_scale_f32 v3, vcc_lo, 1.0, v6, 1.0
	v_mul_f32_e32 v5, v3, v2
	v_fma_f32 v7, -v1, v5, v3
	v_fmac_f32_e32 v5, v7, v2
	v_fma_f32 v1, -v1, v5, v3
	v_div_fmas_f32 v1, v1, v2, v5
	v_div_fixup_f32 v1, v1, v6, 1.0
.LBB5_26:
	v_add_nc_u32_e32 v0, s1, v0
	v_cvt_f32_f16_sdwa v5, v59 dst_sel:DWORD dst_unused:UNUSED_PAD src0_sel:WORD_1
	v_mov_b32_e32 v3, 0
	v_cvt_f32_f16_e32 v6, v59
	v_cvt_f32_f16_sdwa v11, v55 dst_sel:DWORD dst_unused:UNUSED_PAD src0_sel:WORD_1
	v_lshl_add_u32 v2, v0, 9, v29
	v_cvt_f32_f16_e32 v12, v55
	v_mul_f32_e32 v8, v1, v5
	v_mul_f32_e32 v7, v1, v6
	;; [unrolled: 1-line block ×3, first 2 shown]
	v_add_nc_u32_e32 v11, 0x80, v2
	v_mul_f32_e32 v5, v1, v12
	v_mov_b32_e32 v12, v3
	v_lshlrev_b64 v[9:10], 2, v[2:3]
	v_cvt_f32_f16_sdwa v13, v57 dst_sel:DWORD dst_unused:UNUSED_PAD src0_sel:WORD_1
	v_cvt_f32_f16_e32 v17, v57
	v_cvt_f32_f16_sdwa v21, v54 dst_sel:DWORD dst_unused:UNUSED_PAD src0_sel:WORD_1
	v_lshlrev_b64 v[15:16], 2, v[11:12]
	v_cvt_f32_f16_e32 v22, v54
	v_add_co_u32 v23, vcc_lo, s20, v9
	v_add_co_ci_u32_e64 v24, null, s21, v10, vcc_lo
	v_add_co_u32 v25, vcc_lo, s20, v15
	v_add_co_ci_u32_e64 v26, null, s21, v16, vcc_lo
	v_add_nc_u32_e32 v15, 0x100, v2
	v_mov_b32_e32 v16, v3
	v_cvt_f32_f16_e32 v10, v58
	v_add_nc_u32_e32 v2, 0x180, v2
	v_cvt_f32_f16_sdwa v9, v58 dst_sel:DWORD dst_unused:UNUSED_PAD src0_sel:WORD_1
	v_cvt_f32_f16_e32 v29, v53
	v_lshlrev_b64 v[19:20], 2, v[15:16]
	v_mul_f32_e32 v11, v1, v10
	v_mul_f32_e32 v10, v1, v13
	v_cvt_f32_f16_sdwa v13, v56 dst_sel:DWORD dst_unused:UNUSED_PAD src0_sel:WORD_1
	v_lshlrev_b64 v[2:3], 2, v[2:3]
	v_mul_f32_e32 v12, v1, v9
	v_add_co_u32 v27, vcc_lo, s20, v19
	v_mul_f32_e32 v9, v1, v17
	v_cvt_f32_f16_e32 v17, v56
	v_mul_f32_e32 v18, v1, v13
	v_add_co_ci_u32_e64 v28, null, s21, v20, vcc_lo
	v_cvt_f32_f16_sdwa v13, v52 dst_sel:DWORD dst_unused:UNUSED_PAD src0_sel:WORD_1
	v_cvt_f32_f16_e32 v19, v52
	v_cvt_f32_f16_sdwa v20, v53 dst_sel:DWORD dst_unused:UNUSED_PAD src0_sel:WORD_1
	v_mul_f32_e32 v17, v1, v17
	v_mul_f32_e32 v16, v1, v21
	;; [unrolled: 1-line block ×7, first 2 shown]
	v_add_co_u32 v1, vcc_lo, s20, v2
	v_add_co_ci_u32_e64 v2, null, s21, v3, vcc_lo
	global_store_dwordx4 v[23:24], v[5:8], off
	global_store_dwordx4 v[25:26], v[9:12], off
	;; [unrolled: 1-line block ×4, first 2 shown]
	s_and_saveexec_b32 s1, s0
	s_cbranch_execz .LBB5_28
; %bb.27:
	v_ashrrev_i32_e32 v1, 31, v0
	v_mov_b32_e32 v3, v14
	v_lshlrev_b64 v[0:1], 3, v[0:1]
	v_add_co_u32 v0, vcc_lo, s22, v0
	v_add_co_ci_u32_e64 v1, null, s23, v1, vcc_lo
	global_store_dwordx2 v[0:1], v[3:4], off
.LBB5_28:
	s_endpgm
	.section	.rodata,"a",@progbits
	.p2align	6, 0x0
	.amdhsa_kernel _ZL15flash_attn_tileILi576ELi512ELi1ELi16ELb0EEvPKcS1_S1_S1_S1_PKiPfP15HIP_vector_typeIfLj2EEffffjfiS5_IjLj3EEiiiiiiiiiiiliiliiiiil
		.amdhsa_group_segment_fixed_size 29696
		.amdhsa_private_segment_fixed_size 0
		.amdhsa_kernarg_size 464
		.amdhsa_user_sgpr_count 6
		.amdhsa_user_sgpr_private_segment_buffer 1
		.amdhsa_user_sgpr_dispatch_ptr 0
		.amdhsa_user_sgpr_queue_ptr 0
		.amdhsa_user_sgpr_kernarg_segment_ptr 1
		.amdhsa_user_sgpr_dispatch_id 0
		.amdhsa_user_sgpr_flat_scratch_init 0
		.amdhsa_user_sgpr_private_segment_size 0
		.amdhsa_wavefront_size32 1
		.amdhsa_uses_dynamic_stack 0
		.amdhsa_system_sgpr_private_segment_wavefront_offset 0
		.amdhsa_system_sgpr_workgroup_id_x 1
		.amdhsa_system_sgpr_workgroup_id_y 1
		.amdhsa_system_sgpr_workgroup_id_z 1
		.amdhsa_system_sgpr_workgroup_info 0
		.amdhsa_system_vgpr_workitem_id 1
		.amdhsa_next_free_vgpr 125
		.amdhsa_next_free_sgpr 48
		.amdhsa_reserve_vcc 1
		.amdhsa_reserve_flat_scratch 0
		.amdhsa_float_round_mode_32 0
		.amdhsa_float_round_mode_16_64 0
		.amdhsa_float_denorm_mode_32 3
		.amdhsa_float_denorm_mode_16_64 3
		.amdhsa_dx10_clamp 1
		.amdhsa_ieee_mode 1
		.amdhsa_fp16_overflow 0
		.amdhsa_workgroup_processor_mode 1
		.amdhsa_memory_ordered 1
		.amdhsa_forward_progress 1
		.amdhsa_shared_vgpr_count 0
		.amdhsa_exception_fp_ieee_invalid_op 0
		.amdhsa_exception_fp_denorm_src 0
		.amdhsa_exception_fp_ieee_div_zero 0
		.amdhsa_exception_fp_ieee_overflow 0
		.amdhsa_exception_fp_ieee_underflow 0
		.amdhsa_exception_fp_ieee_inexact 0
		.amdhsa_exception_int_div_zero 0
	.end_amdhsa_kernel
	.section	.text._ZL15flash_attn_tileILi576ELi512ELi1ELi16ELb0EEvPKcS1_S1_S1_S1_PKiPfP15HIP_vector_typeIfLj2EEffffjfiS5_IjLj3EEiiiiiiiiiiiliiliiiiil,"axG",@progbits,_ZL15flash_attn_tileILi576ELi512ELi1ELi16ELb0EEvPKcS1_S1_S1_S1_PKiPfP15HIP_vector_typeIfLj2EEffffjfiS5_IjLj3EEiiiiiiiiiiiliiliiiiil,comdat
.Lfunc_end5:
	.size	_ZL15flash_attn_tileILi576ELi512ELi1ELi16ELb0EEvPKcS1_S1_S1_S1_PKiPfP15HIP_vector_typeIfLj2EEffffjfiS5_IjLj3EEiiiiiiiiiiiliiliiiiil, .Lfunc_end5-_ZL15flash_attn_tileILi576ELi512ELi1ELi16ELb0EEvPKcS1_S1_S1_S1_PKiPfP15HIP_vector_typeIfLj2EEffffjfiS5_IjLj3EEiiiiiiiiiiiliiliiiiil
                                        ; -- End function
	.set _ZL15flash_attn_tileILi576ELi512ELi1ELi16ELb0EEvPKcS1_S1_S1_S1_PKiPfP15HIP_vector_typeIfLj2EEffffjfiS5_IjLj3EEiiiiiiiiiiiliiliiiiil.num_vgpr, 125
	.set _ZL15flash_attn_tileILi576ELi512ELi1ELi16ELb0EEvPKcS1_S1_S1_S1_PKiPfP15HIP_vector_typeIfLj2EEffffjfiS5_IjLj3EEiiiiiiiiiiiliiliiiiil.num_agpr, 0
	.set _ZL15flash_attn_tileILi576ELi512ELi1ELi16ELb0EEvPKcS1_S1_S1_S1_PKiPfP15HIP_vector_typeIfLj2EEffffjfiS5_IjLj3EEiiiiiiiiiiiliiliiiiil.numbered_sgpr, 48
	.set _ZL15flash_attn_tileILi576ELi512ELi1ELi16ELb0EEvPKcS1_S1_S1_S1_PKiPfP15HIP_vector_typeIfLj2EEffffjfiS5_IjLj3EEiiiiiiiiiiiliiliiiiil.num_named_barrier, 0
	.set _ZL15flash_attn_tileILi576ELi512ELi1ELi16ELb0EEvPKcS1_S1_S1_S1_PKiPfP15HIP_vector_typeIfLj2EEffffjfiS5_IjLj3EEiiiiiiiiiiiliiliiiiil.private_seg_size, 0
	.set _ZL15flash_attn_tileILi576ELi512ELi1ELi16ELb0EEvPKcS1_S1_S1_S1_PKiPfP15HIP_vector_typeIfLj2EEffffjfiS5_IjLj3EEiiiiiiiiiiiliiliiiiil.uses_vcc, 1
	.set _ZL15flash_attn_tileILi576ELi512ELi1ELi16ELb0EEvPKcS1_S1_S1_S1_PKiPfP15HIP_vector_typeIfLj2EEffffjfiS5_IjLj3EEiiiiiiiiiiiliiliiiiil.uses_flat_scratch, 0
	.set _ZL15flash_attn_tileILi576ELi512ELi1ELi16ELb0EEvPKcS1_S1_S1_S1_PKiPfP15HIP_vector_typeIfLj2EEffffjfiS5_IjLj3EEiiiiiiiiiiiliiliiiiil.has_dyn_sized_stack, 0
	.set _ZL15flash_attn_tileILi576ELi512ELi1ELi16ELb0EEvPKcS1_S1_S1_S1_PKiPfP15HIP_vector_typeIfLj2EEffffjfiS5_IjLj3EEiiiiiiiiiiiliiliiiiil.has_recursion, 0
	.set _ZL15flash_attn_tileILi576ELi512ELi1ELi16ELb0EEvPKcS1_S1_S1_S1_PKiPfP15HIP_vector_typeIfLj2EEffffjfiS5_IjLj3EEiiiiiiiiiiiliiliiiiil.has_indirect_call, 0
	.section	.AMDGPU.csdata,"",@progbits
; Kernel info:
; codeLenInByte = 44144
; TotalNumSgprs: 50
; NumVgprs: 125
; ScratchSize: 0
; MemoryBound: 0
; FloatMode: 240
; IeeeMode: 1
; LDSByteSize: 29696 bytes/workgroup (compile time only)
; SGPRBlocks: 0
; VGPRBlocks: 15
; NumSGPRsForWavesPerEU: 50
; NumVGPRsForWavesPerEU: 125
; Occupancy: 8
; WaveLimiterHint : 1
; COMPUTE_PGM_RSRC2:SCRATCH_EN: 0
; COMPUTE_PGM_RSRC2:USER_SGPR: 6
; COMPUTE_PGM_RSRC2:TRAP_HANDLER: 0
; COMPUTE_PGM_RSRC2:TGID_X_EN: 1
; COMPUTE_PGM_RSRC2:TGID_Y_EN: 1
; COMPUTE_PGM_RSRC2:TGID_Z_EN: 1
; COMPUTE_PGM_RSRC2:TIDIG_COMP_CNT: 1
	.section	.text._ZL25flash_attn_mask_to_KV_maxILi1EEvPK7__half2Piiii,"axG",@progbits,_ZL25flash_attn_mask_to_KV_maxILi1EEvPK7__half2Piiii,comdat
	.globl	_ZL25flash_attn_mask_to_KV_maxILi1EEvPK7__half2Piiii ; -- Begin function _ZL25flash_attn_mask_to_KV_maxILi1EEvPK7__half2Piiii
	.p2align	8
	.type	_ZL25flash_attn_mask_to_KV_maxILi1EEvPK7__half2Piiii,@function
_ZL25flash_attn_mask_to_KV_maxILi1EEvPK7__half2Piiii: ; @_ZL25flash_attn_mask_to_KV_maxILi1EEvPK7__half2Piiii
; %bb.0:
	s_load_dwordx4 s[8:11], s[4:5], 0x0
	s_mov_b32 s0, exec_lo
	v_cmpx_gt_u32_e32 32, v0
; %bb.1:
	v_lshlrev_b32_e32 v1, 2, v0
	v_mov_b32_e32 v2, 1
	ds_write_b32 v1, v2
; %bb.2:
	s_or_b32 exec_lo, exec_lo, s0
	s_clause 0x1
	s_load_dwordx4 s[12:15], s[4:5], 0x10
	s_load_dword s1, s[4:5], 0x20
	v_and_b32_e32 v1, 31, v0
	v_lshrrev_b32_e32 v3, 3, v0
	v_mov_b32_e32 v2, 0
	v_mov_b32_e32 v4, 0x204
	s_waitcnt lgkmcnt(0)
	v_lshlrev_b32_e32 v5, 2, v1
	s_barrier
	buffer_gl0_inv
	s_mul_i32 s0, s14, s7
	s_mul_i32 s2, s13, s6
	s_add_i32 s2, s0, s2
	v_cmp_eq_u32_e64 s0, 0, v1
	s_ashr_i32 s3, s2, 31
	s_lshl_b64 s[4:5], s[2:3], 2
	s_add_u32 s3, s8, s4
	s_addc_u32 s4, s9, s5
	s_lshl_b32 s5, s12, 8
	s_branch .LBB6_4
	.p2align	6
.LBB6_3:                                ;   in Loop: Header=BB6_4 Depth=1
	s_or_b32 exec_lo, exec_lo, s9
	s_waitcnt lgkmcnt(0)
	s_barrier
	buffer_gl0_inv
	ds_read_b32 v1, v5
	s_waitcnt lgkmcnt(0)
	s_barrier
	buffer_gl0_inv
	v_cmp_ne_u32_e32 vcc_lo, 0, v1
	s_cmp_lg_u32 vcc_lo, exec_lo
	s_cselect_b32 s8, -1, 0
	s_and_b32 vcc_lo, exec_lo, s8
	s_cbranch_vccnz .LBB6_8
.LBB6_4:                                ; =>This Inner Loop Header: Depth=1
	s_mov_b32 s2, s5
	s_addk_i32 s5, 0xff00
	s_cmp_lt_i32 s5, 0
	s_cbranch_scc1 .LBB6_7
; %bb.5:                                ;   in Loop: Header=BB6_4 Depth=1
	s_lshr_b32 s9, s5, 1
	s_mov_b32 s8, exec_lo
	v_add_nc_u32_e32 v1, s9, v0
	v_lshlrev_b64 v[6:7], 2, v[1:2]
	v_add_co_u32 v6, vcc_lo, s3, v6
	v_add_co_ci_u32_e64 v7, null, s4, v7, vcc_lo
	global_load_dword v1, v[6:7], off
	s_waitcnt vmcnt(0)
	v_cmp_class_f16_e64 s9, v1, 0x204
	v_cmp_class_f16_sdwa s12, v1, v4 src0_sel:WORD_1 src1_sel:DWORD
	s_and_b32 s9, s9, s12
	v_cndmask_b32_e64 v1, 0, 1, s9
	v_cmp_ne_u32_e32 vcc_lo, 0, v1
	s_and_saveexec_b32 s9, s0
	s_cbranch_execz .LBB6_3
; %bb.6:                                ;   in Loop: Header=BB6_4 Depth=1
	s_cmp_eq_u32 vcc_lo, s8
	s_cselect_b32 s8, -1, 0
	v_cndmask_b32_e64 v1, 0, 1, s8
	ds_write_b32 v3, v1
	s_branch .LBB6_3
.LBB6_7:                                ;   in Loop: Header=BB6_4 Depth=1
	s_cbranch_execz .LBB6_4
.LBB6_8:
	s_mov_b32 s0, exec_lo
	v_cmpx_eq_u32_e32 0, v0
	s_cbranch_execz .LBB6_10
; %bb.9:
	s_mul_i32 s0, s1, s7
	v_mov_b32_e32 v0, 0
	s_add_i32 s0, s0, s6
	v_mov_b32_e32 v1, s2
	s_ashr_i32 s1, s0, 31
	s_lshl_b64 s[0:1], s[0:1], 2
	s_add_u32 s0, s10, s0
	s_addc_u32 s1, s11, s1
	global_store_dword v0, v1, s[0:1]
.LBB6_10:
	s_endpgm
	.section	.rodata,"a",@progbits
	.p2align	6, 0x0
	.amdhsa_kernel _ZL25flash_attn_mask_to_KV_maxILi1EEvPK7__half2Piiii
		.amdhsa_group_segment_fixed_size 128
		.amdhsa_private_segment_fixed_size 0
		.amdhsa_kernarg_size 288
		.amdhsa_user_sgpr_count 6
		.amdhsa_user_sgpr_private_segment_buffer 1
		.amdhsa_user_sgpr_dispatch_ptr 0
		.amdhsa_user_sgpr_queue_ptr 0
		.amdhsa_user_sgpr_kernarg_segment_ptr 1
		.amdhsa_user_sgpr_dispatch_id 0
		.amdhsa_user_sgpr_flat_scratch_init 0
		.amdhsa_user_sgpr_private_segment_size 0
		.amdhsa_wavefront_size32 1
		.amdhsa_uses_dynamic_stack 0
		.amdhsa_system_sgpr_private_segment_wavefront_offset 0
		.amdhsa_system_sgpr_workgroup_id_x 1
		.amdhsa_system_sgpr_workgroup_id_y 1
		.amdhsa_system_sgpr_workgroup_id_z 0
		.amdhsa_system_sgpr_workgroup_info 0
		.amdhsa_system_vgpr_workitem_id 0
		.amdhsa_next_free_vgpr 8
		.amdhsa_next_free_sgpr 16
		.amdhsa_reserve_vcc 1
		.amdhsa_reserve_flat_scratch 0
		.amdhsa_float_round_mode_32 0
		.amdhsa_float_round_mode_16_64 0
		.amdhsa_float_denorm_mode_32 3
		.amdhsa_float_denorm_mode_16_64 3
		.amdhsa_dx10_clamp 1
		.amdhsa_ieee_mode 1
		.amdhsa_fp16_overflow 0
		.amdhsa_workgroup_processor_mode 1
		.amdhsa_memory_ordered 1
		.amdhsa_forward_progress 1
		.amdhsa_shared_vgpr_count 0
		.amdhsa_exception_fp_ieee_invalid_op 0
		.amdhsa_exception_fp_denorm_src 0
		.amdhsa_exception_fp_ieee_div_zero 0
		.amdhsa_exception_fp_ieee_overflow 0
		.amdhsa_exception_fp_ieee_underflow 0
		.amdhsa_exception_fp_ieee_inexact 0
		.amdhsa_exception_int_div_zero 0
	.end_amdhsa_kernel
	.section	.text._ZL25flash_attn_mask_to_KV_maxILi1EEvPK7__half2Piiii,"axG",@progbits,_ZL25flash_attn_mask_to_KV_maxILi1EEvPK7__half2Piiii,comdat
.Lfunc_end6:
	.size	_ZL25flash_attn_mask_to_KV_maxILi1EEvPK7__half2Piiii, .Lfunc_end6-_ZL25flash_attn_mask_to_KV_maxILi1EEvPK7__half2Piiii
                                        ; -- End function
	.set _ZL25flash_attn_mask_to_KV_maxILi1EEvPK7__half2Piiii.num_vgpr, 8
	.set _ZL25flash_attn_mask_to_KV_maxILi1EEvPK7__half2Piiii.num_agpr, 0
	.set _ZL25flash_attn_mask_to_KV_maxILi1EEvPK7__half2Piiii.numbered_sgpr, 16
	.set _ZL25flash_attn_mask_to_KV_maxILi1EEvPK7__half2Piiii.num_named_barrier, 0
	.set _ZL25flash_attn_mask_to_KV_maxILi1EEvPK7__half2Piiii.private_seg_size, 0
	.set _ZL25flash_attn_mask_to_KV_maxILi1EEvPK7__half2Piiii.uses_vcc, 1
	.set _ZL25flash_attn_mask_to_KV_maxILi1EEvPK7__half2Piiii.uses_flat_scratch, 0
	.set _ZL25flash_attn_mask_to_KV_maxILi1EEvPK7__half2Piiii.has_dyn_sized_stack, 0
	.set _ZL25flash_attn_mask_to_KV_maxILi1EEvPK7__half2Piiii.has_recursion, 0
	.set _ZL25flash_attn_mask_to_KV_maxILi1EEvPK7__half2Piiii.has_indirect_call, 0
	.section	.AMDGPU.csdata,"",@progbits
; Kernel info:
; codeLenInByte = 452
; TotalNumSgprs: 18
; NumVgprs: 8
; ScratchSize: 0
; MemoryBound: 0
; FloatMode: 240
; IeeeMode: 1
; LDSByteSize: 128 bytes/workgroup (compile time only)
; SGPRBlocks: 0
; VGPRBlocks: 0
; NumSGPRsForWavesPerEU: 18
; NumVGPRsForWavesPerEU: 8
; Occupancy: 16
; WaveLimiterHint : 0
; COMPUTE_PGM_RSRC2:SCRATCH_EN: 0
; COMPUTE_PGM_RSRC2:USER_SGPR: 6
; COMPUTE_PGM_RSRC2:TRAP_HANDLER: 0
; COMPUTE_PGM_RSRC2:TGID_X_EN: 1
; COMPUTE_PGM_RSRC2:TGID_Y_EN: 1
; COMPUTE_PGM_RSRC2:TGID_Z_EN: 0
; COMPUTE_PGM_RSRC2:TIDIG_COMP_CNT: 0
	.section	.text._ZL33flash_attn_stream_k_fixup_uniformILi512ELi1ELi16EEvPfPK15HIP_vector_typeIfLj2EEiiiiiiS1_IjLj3EES5_S5_,"axG",@progbits,_ZL33flash_attn_stream_k_fixup_uniformILi512ELi1ELi16EEvPfPK15HIP_vector_typeIfLj2EEiiiiiiS1_IjLj3EES5_S5_,comdat
	.globl	_ZL33flash_attn_stream_k_fixup_uniformILi512ELi1ELi16EEvPfPK15HIP_vector_typeIfLj2EEiiiiiiS1_IjLj3EES5_S5_ ; -- Begin function _ZL33flash_attn_stream_k_fixup_uniformILi512ELi1ELi16EEvPfPK15HIP_vector_typeIfLj2EEiiiiiiS1_IjLj3EES5_S5_
	.p2align	8
	.type	_ZL33flash_attn_stream_k_fixup_uniformILi512ELi1ELi16EEvPfPK15HIP_vector_typeIfLj2EEiiiiiiS1_IjLj3EES5_S5_,@function
_ZL33flash_attn_stream_k_fixup_uniformILi512ELi1ELi16EEvPfPK15HIP_vector_typeIfLj2EEiiiiiiS1_IjLj3EES5_S5_: ; @_ZL33flash_attn_stream_k_fixup_uniformILi512ELi1ELi16EEvPfPK15HIP_vector_typeIfLj2EEiiiiiiS1_IjLj3EES5_S5_
; %bb.0:
	s_clause 0x1
	s_load_dwordx8 s[12:19], s[4:5], 0x1c
	s_load_dwordx4 s[0:3], s[4:5], 0x3c
	s_waitcnt lgkmcnt(0)
	s_mul_hi_u32 s9, s15, s6
	s_add_i32 s9, s6, s9
	s_lshr_b32 s9, s9, s16
	s_mul_i32 s10, s9, s17
	s_sub_i32 s16, s6, s10
	s_load_dwordx2 s[10:11], s[4:5], 0x10
	s_mul_hi_u32 s15, s16, s18
	s_add_i32 s15, s16, s15
	s_lshr_b32 s15, s15, s19
	s_mul_i32 s0, s15, s0
	s_sub_i32 s0, s16, s0
	s_mul_hi_u32 s1, s0, s1
	s_add_i32 s1, s0, s1
	s_lshr_b32 s1, s1, s2
	s_mul_i32 s2, s1, s3
	s_lshl_b32 s17, s1, 4
	s_sub_i32 s16, s0, s2
	s_add_i32 s16, s16, s7
	s_waitcnt lgkmcnt(0)
	s_cmp_lt_i32 s16, s10
	s_cselect_b32 s0, -1, 0
	s_add_i32 s17, s17, s8
	s_cmp_lt_i32 s17, s13
	s_cselect_b32 s1, -1, 0
	s_and_b32 s0, s0, s1
	s_andn2_b32 vcc_lo, exec_lo, s0
	s_cbranch_vccnz .LBB7_6
; %bb.1:
	s_mul_i32 s9, s9, s10
	s_load_dwordx4 s[0:3], s[4:5], 0x0
	s_mul_i32 s15, s15, s13
	s_add_i32 s4, s16, s9
	s_add_i32 s5, s17, s15
	s_mul_i32 s4, s4, s11
	s_add_i32 s5, s5, s4
	s_mul_i32 s4, s14, s6
	v_lshl_or_b32 v1, s5, 9, v0
	s_add_i32 s10, s4, s14
	v_ashrrev_i32_e32 v2, 31, v1
	v_lshlrev_b64 v[1:2], 2, v[1:2]
	s_waitcnt lgkmcnt(0)
	v_add_co_u32 v1, vcc_lo, s0, v1
	v_add_co_ci_u32_e64 v2, null, s1, v2, vcc_lo
	s_add_i32 s0, s7, s10
	s_lshl_b32 s0, s0, 4
	global_load_dword v5, v[1:2], off
	s_add_i32 s0, s0, s8
	s_add_i32 s0, s0, -16
	s_ashr_i32 s1, s0, 31
	s_lshl_b64 s[0:1], s[0:1], 3
	s_add_u32 s0, s2, s0
	s_addc_u32 s1, s3, s1
	s_add_i32 s5, s10, -2
	s_load_dword s11, s[0:1], 0x4
	s_cmp_lt_i32 s5, s4
	s_cbranch_scc1 .LBB7_4
; %bb.2:
	s_lshl_b32 s16, s12, 6
	s_load_dword s13, s[0:1], 0x0
	s_ashr_i32 s17, s16, 31
	s_waitcnt lgkmcnt(0)
	v_mov_b32_e32 v6, s11
	s_lshl_b64 s[0:1], s[16:17], 2
	s_add_u32 s5, s2, s0
	s_addc_u32 s9, s3, s1
	s_add_i32 s6, s6, 1
	s_lshl_b32 s0, s8, 9
	s_lshl_b32 s1, s7, 13
	s_mul_i32 s6, s14, s6
	s_add_i32 s0, s0, s1
	s_lshl_b32 s1, s6, 13
	s_add_i32 s6, s10, -1
	s_add_i32 s0, s0, s1
	s_add_i32 s1, s7, s12
	v_or_b32_e32 v0, s0, v0
	s_add_i32 s1, s1, s10
	s_lshl_b32 s0, s1, 4
	v_add_nc_u32_e32 v3, 0xffffc000, v0
	v_mov_b32_e32 v0, s13
	s_add_i32 s8, s8, s0
	s_sub_i32 s0, s8, 32
.LBB7_3:                                ; =>This Inner Loop Header: Depth=1
	v_ashrrev_i32_e32 v4, 31, v3
	s_ashr_i32 s1, s0, 31
	s_lshl_b64 s[10:11], s[0:1], 3
	s_add_u32 s10, s2, s10
	v_lshlrev_b64 v[7:8], 2, v[3:4]
	s_addc_u32 s11, s3, s11
	v_add_nc_u32_e32 v3, 0xffffe000, v3
	s_add_i32 s6, s6, -1
	s_add_i32 s0, s0, -16
	s_cmp_le_i32 s6, s4
	v_add_co_u32 v7, vcc_lo, s5, v7
	v_add_co_ci_u32_e64 v8, null, s9, v8, vcc_lo
	s_load_dwordx2 s[10:11], s[10:11], 0x0
	global_load_dword v4, v[7:8], off
	v_max_f32_e32 v7, v0, v0
	s_waitcnt lgkmcnt(0)
	v_max_f32_e64 v8, s10, s10
	v_max_f32_e32 v7, v7, v8
	v_sub_f32_e32 v8, s10, v7
	v_sub_f32_e32 v0, v0, v7
	v_mul_f32_e32 v9, 0x3fb8aa3b, v8
	v_mul_f32_e32 v12, 0x3fb8aa3b, v0
	v_cmp_ngt_f32_e32 vcc_lo, 0xc2ce8ed0, v8
	v_fma_f32 v10, 0x3fb8aa3b, v8, -v9
	v_rndne_f32_e32 v11, v9
	v_fma_f32 v13, 0x3fb8aa3b, v0, -v12
	v_rndne_f32_e32 v14, v12
	v_fmac_f32_e32 v10, 0x32a5705f, v8
	v_sub_f32_e32 v9, v9, v11
	v_fmac_f32_e32 v13, 0x32a5705f, v0
	v_cvt_i32_f32_e32 v11, v11
	v_add_f32_e32 v9, v9, v10
	v_sub_f32_e32 v10, v12, v14
	v_exp_f32_e32 v9, v9
	v_add_f32_e32 v10, v10, v13
	v_exp_f32_e32 v10, v10
	v_ldexp_f32 v9, v9, v11
	v_cvt_i32_f32_e32 v11, v14
	v_cndmask_b32_e32 v9, 0, v9, vcc_lo
	v_cmp_nlt_f32_e32 vcc_lo, 0x42b17218, v8
	v_ldexp_f32 v10, v10, v11
	v_mov_b32_e32 v11, v6
	v_cndmask_b32_e32 v9, 0x7f800000, v9, vcc_lo
	v_cmp_ngt_f32_e32 vcc_lo, 0xc2ce8ed0, v0
	v_cndmask_b32_e32 v10, 0, v10, vcc_lo
	v_cmp_le_f32_e32 vcc_lo, 0xc1a00000, v8
	v_cndmask_b32_e32 v8, 0, v9, vcc_lo
	v_cmp_nlt_f32_e32 vcc_lo, 0x42b17218, v0
	s_waitcnt vmcnt(1)
	v_mov_b32_e32 v9, v5
	v_cndmask_b32_e32 v5, 0x7f800000, v10, vcc_lo
	v_mul_f32_e32 v10, s11, v8
	v_cmp_le_f32_e32 vcc_lo, 0xc1a00000, v0
	v_mov_b32_e32 v0, v7
	v_mov_b32_e32 v6, v10
	v_cndmask_b32_e32 v12, 0, v5, vcc_lo
	v_fmac_f32_e32 v6, v11, v12
	s_waitcnt vmcnt(0)
	v_mul_f32_e32 v5, v4, v8
	v_fmac_f32_e32 v5, v9, v12
	s_cbranch_scc0 .LBB7_3
	s_branch .LBB7_5
.LBB7_4:
	s_waitcnt lgkmcnt(0)
	v_mov_b32_e32 v6, s11
.LBB7_5:
	s_waitcnt vmcnt(0)
	v_div_scale_f32 v0, null, v6, v6, v5
	v_rcp_f32_e32 v3, v0
	v_fma_f32 v4, -v0, v3, 1.0
	v_fmac_f32_e32 v3, v4, v3
	v_div_scale_f32 v4, vcc_lo, v5, v6, v5
	v_mul_f32_e32 v7, v4, v3
	v_fma_f32 v8, -v0, v7, v4
	v_fmac_f32_e32 v7, v8, v3
	v_fma_f32 v0, -v0, v7, v4
	v_div_fmas_f32 v0, v0, v3, v7
	v_div_fixup_f32 v0, v0, v6, v5
	global_store_dword v[1:2], v0, off
.LBB7_6:
	s_endpgm
	.section	.rodata,"a",@progbits
	.p2align	6, 0x0
	.amdhsa_kernel _ZL33flash_attn_stream_k_fixup_uniformILi512ELi1ELi16EEvPfPK15HIP_vector_typeIfLj2EEiiiiiiS1_IjLj3EES5_S5_
		.amdhsa_group_segment_fixed_size 0
		.amdhsa_private_segment_fixed_size 0
		.amdhsa_kernarg_size 76
		.amdhsa_user_sgpr_count 6
		.amdhsa_user_sgpr_private_segment_buffer 1
		.amdhsa_user_sgpr_dispatch_ptr 0
		.amdhsa_user_sgpr_queue_ptr 0
		.amdhsa_user_sgpr_kernarg_segment_ptr 1
		.amdhsa_user_sgpr_dispatch_id 0
		.amdhsa_user_sgpr_flat_scratch_init 0
		.amdhsa_user_sgpr_private_segment_size 0
		.amdhsa_wavefront_size32 1
		.amdhsa_uses_dynamic_stack 0
		.amdhsa_system_sgpr_private_segment_wavefront_offset 0
		.amdhsa_system_sgpr_workgroup_id_x 1
		.amdhsa_system_sgpr_workgroup_id_y 1
		.amdhsa_system_sgpr_workgroup_id_z 1
		.amdhsa_system_sgpr_workgroup_info 0
		.amdhsa_system_vgpr_workitem_id 0
		.amdhsa_next_free_vgpr 15
		.amdhsa_next_free_sgpr 20
		.amdhsa_reserve_vcc 1
		.amdhsa_reserve_flat_scratch 0
		.amdhsa_float_round_mode_32 0
		.amdhsa_float_round_mode_16_64 0
		.amdhsa_float_denorm_mode_32 3
		.amdhsa_float_denorm_mode_16_64 3
		.amdhsa_dx10_clamp 1
		.amdhsa_ieee_mode 1
		.amdhsa_fp16_overflow 0
		.amdhsa_workgroup_processor_mode 1
		.amdhsa_memory_ordered 1
		.amdhsa_forward_progress 1
		.amdhsa_shared_vgpr_count 0
		.amdhsa_exception_fp_ieee_invalid_op 0
		.amdhsa_exception_fp_denorm_src 0
		.amdhsa_exception_fp_ieee_div_zero 0
		.amdhsa_exception_fp_ieee_overflow 0
		.amdhsa_exception_fp_ieee_underflow 0
		.amdhsa_exception_fp_ieee_inexact 0
		.amdhsa_exception_int_div_zero 0
	.end_amdhsa_kernel
	.section	.text._ZL33flash_attn_stream_k_fixup_uniformILi512ELi1ELi16EEvPfPK15HIP_vector_typeIfLj2EEiiiiiiS1_IjLj3EES5_S5_,"axG",@progbits,_ZL33flash_attn_stream_k_fixup_uniformILi512ELi1ELi16EEvPfPK15HIP_vector_typeIfLj2EEiiiiiiS1_IjLj3EES5_S5_,comdat
.Lfunc_end7:
	.size	_ZL33flash_attn_stream_k_fixup_uniformILi512ELi1ELi16EEvPfPK15HIP_vector_typeIfLj2EEiiiiiiS1_IjLj3EES5_S5_, .Lfunc_end7-_ZL33flash_attn_stream_k_fixup_uniformILi512ELi1ELi16EEvPfPK15HIP_vector_typeIfLj2EEiiiiiiS1_IjLj3EES5_S5_
                                        ; -- End function
	.set _ZL33flash_attn_stream_k_fixup_uniformILi512ELi1ELi16EEvPfPK15HIP_vector_typeIfLj2EEiiiiiiS1_IjLj3EES5_S5_.num_vgpr, 15
	.set _ZL33flash_attn_stream_k_fixup_uniformILi512ELi1ELi16EEvPfPK15HIP_vector_typeIfLj2EEiiiiiiS1_IjLj3EES5_S5_.num_agpr, 0
	.set _ZL33flash_attn_stream_k_fixup_uniformILi512ELi1ELi16EEvPfPK15HIP_vector_typeIfLj2EEiiiiiiS1_IjLj3EES5_S5_.numbered_sgpr, 20
	.set _ZL33flash_attn_stream_k_fixup_uniformILi512ELi1ELi16EEvPfPK15HIP_vector_typeIfLj2EEiiiiiiS1_IjLj3EES5_S5_.num_named_barrier, 0
	.set _ZL33flash_attn_stream_k_fixup_uniformILi512ELi1ELi16EEvPfPK15HIP_vector_typeIfLj2EEiiiiiiS1_IjLj3EES5_S5_.private_seg_size, 0
	.set _ZL33flash_attn_stream_k_fixup_uniformILi512ELi1ELi16EEvPfPK15HIP_vector_typeIfLj2EEiiiiiiS1_IjLj3EES5_S5_.uses_vcc, 1
	.set _ZL33flash_attn_stream_k_fixup_uniformILi512ELi1ELi16EEvPfPK15HIP_vector_typeIfLj2EEiiiiiiS1_IjLj3EES5_S5_.uses_flat_scratch, 0
	.set _ZL33flash_attn_stream_k_fixup_uniformILi512ELi1ELi16EEvPfPK15HIP_vector_typeIfLj2EEiiiiiiS1_IjLj3EES5_S5_.has_dyn_sized_stack, 0
	.set _ZL33flash_attn_stream_k_fixup_uniformILi512ELi1ELi16EEvPfPK15HIP_vector_typeIfLj2EEiiiiiiS1_IjLj3EES5_S5_.has_recursion, 0
	.set _ZL33flash_attn_stream_k_fixup_uniformILi512ELi1ELi16EEvPfPK15HIP_vector_typeIfLj2EEiiiiiiS1_IjLj3EES5_S5_.has_indirect_call, 0
	.section	.AMDGPU.csdata,"",@progbits
; Kernel info:
; codeLenInByte = 824
; TotalNumSgprs: 22
; NumVgprs: 15
; ScratchSize: 0
; MemoryBound: 0
; FloatMode: 240
; IeeeMode: 1
; LDSByteSize: 0 bytes/workgroup (compile time only)
; SGPRBlocks: 0
; VGPRBlocks: 1
; NumSGPRsForWavesPerEU: 22
; NumVGPRsForWavesPerEU: 15
; Occupancy: 16
; WaveLimiterHint : 0
; COMPUTE_PGM_RSRC2:SCRATCH_EN: 0
; COMPUTE_PGM_RSRC2:USER_SGPR: 6
; COMPUTE_PGM_RSRC2:TRAP_HANDLER: 0
; COMPUTE_PGM_RSRC2:TGID_X_EN: 1
; COMPUTE_PGM_RSRC2:TGID_Y_EN: 1
; COMPUTE_PGM_RSRC2:TGID_Z_EN: 1
; COMPUTE_PGM_RSRC2:TIDIG_COMP_CNT: 0
	.section	.text._ZL33flash_attn_stream_k_fixup_generalILi512ELi1ELi16EEvPfPK15HIP_vector_typeIfLj2EEiiiiS1_IjLj3EES5_S5_S5_,"axG",@progbits,_ZL33flash_attn_stream_k_fixup_generalILi512ELi1ELi16EEvPfPK15HIP_vector_typeIfLj2EEiiiiS1_IjLj3EES5_S5_S5_,comdat
	.globl	_ZL33flash_attn_stream_k_fixup_generalILi512ELi1ELi16EEvPfPK15HIP_vector_typeIfLj2EEiiiiS1_IjLj3EES5_S5_S5_ ; -- Begin function _ZL33flash_attn_stream_k_fixup_generalILi512ELi1ELi16EEvPfPK15HIP_vector_typeIfLj2EEiiiiS1_IjLj3EES5_S5_S5_
	.p2align	8
	.type	_ZL33flash_attn_stream_k_fixup_generalILi512ELi1ELi16EEvPfPK15HIP_vector_typeIfLj2EEiiiiS1_IjLj3EES5_S5_S5_,@function
_ZL33flash_attn_stream_k_fixup_generalILi512ELi1ELi16EEvPfPK15HIP_vector_typeIfLj2EEiiiiS1_IjLj3EES5_S5_S5_: ; @_ZL33flash_attn_stream_k_fixup_generalILi512ELi1ELi16EEvPfPK15HIP_vector_typeIfLj2EEiiiiS1_IjLj3EES5_S5_S5_
; %bb.0:
	s_clause 0x1
	s_load_dwordx4 s[0:3], s[4:5], 0x10
	s_load_dword s9, s[4:5], 0x50
	s_mov_b32 s16, 0
	s_waitcnt lgkmcnt(0)
	s_mul_hi_i32 s17, s3, s6
	s_mul_i32 s18, s3, s6
	s_cmp_lg_u64 s[16:17], 0
	s_cbranch_scc0 .LBB8_21
; %bb.1:
	s_add_u32 s10, s9, 0
	s_addc_u32 s11, 0, 0
	s_xor_b64 s[10:11], s[10:11], 0
	v_cvt_f32_u32_e32 v1, s10
	v_cvt_f32_u32_e32 v2, s11
	s_sub_u32 s14, 0, s10
	s_subb_u32 s15, 0, s11
	v_fmamk_f32 v1, v2, 0x4f800000, v1
	v_rcp_f32_e32 v1, v1
	v_mul_f32_e32 v1, 0x5f7ffffc, v1
	v_mul_f32_e32 v2, 0x2f800000, v1
	v_trunc_f32_e32 v2, v2
	v_fmamk_f32 v1, v2, 0xcf800000, v1
	v_cvt_u32_f32_e32 v2, v2
	v_cvt_u32_f32_e32 v1, v1
	v_readfirstlane_b32 s12, v2
	v_readfirstlane_b32 s13, v1
	s_mul_i32 s19, s14, s12
	s_mul_hi_u32 s21, s14, s13
	s_mul_i32 s20, s15, s13
	s_add_i32 s19, s21, s19
	s_mul_i32 s22, s14, s13
	s_add_i32 s19, s19, s20
	s_mul_hi_u32 s21, s13, s22
	s_mul_i32 s24, s13, s19
	s_mul_hi_u32 s23, s12, s22
	s_mul_i32 s20, s12, s22
	s_mul_hi_u32 s22, s13, s19
	s_add_u32 s21, s21, s24
	s_addc_u32 s22, 0, s22
	s_mul_hi_u32 s25, s12, s19
	s_add_u32 s20, s21, s20
	s_mul_i32 s19, s12, s19
	s_addc_u32 s20, s22, s23
	s_addc_u32 s21, s25, 0
	s_add_u32 s19, s20, s19
	s_addc_u32 s20, 0, s21
	s_add_u32 s13, s13, s19
	s_cselect_b32 s19, -1, 0
	s_mul_hi_u32 s21, s14, s13
	s_cmp_lg_u32 s19, 0
	s_mul_i32 s19, s14, s13
	s_addc_u32 s12, s12, s20
	s_mul_i32 s15, s15, s13
	s_mul_i32 s14, s14, s12
	s_mul_hi_u32 s20, s13, s19
	s_add_i32 s14, s21, s14
	s_mul_hi_u32 s21, s12, s19
	s_add_i32 s14, s14, s15
	s_mul_i32 s15, s12, s19
	s_mul_i32 s23, s13, s14
	s_mul_hi_u32 s22, s13, s14
	s_add_u32 s20, s20, s23
	s_addc_u32 s22, 0, s22
	s_mul_hi_u32 s19, s12, s14
	s_add_u32 s15, s20, s15
	s_mul_i32 s14, s12, s14
	s_addc_u32 s15, s22, s21
	s_addc_u32 s19, s19, 0
	s_add_u32 s14, s15, s14
	s_addc_u32 s15, 0, s19
	s_add_u32 s19, s13, s14
	s_cselect_b32 s13, -1, 0
	s_cmp_lg_u32 s13, 0
	s_addc_u32 s20, s12, s15
	s_ashr_i32 s12, s17, 31
	s_add_u32 s14, s18, s12
	s_mov_b32 s13, s12
	s_addc_u32 s15, s17, s12
	s_xor_b64 s[14:15], s[14:15], s[12:13]
	s_mul_i32 s21, s14, s20
	s_mul_hi_u32 s22, s14, s19
	s_mul_hi_u32 s17, s14, s20
	;; [unrolled: 1-line block ×3, first 2 shown]
	s_mul_i32 s19, s15, s19
	s_add_u32 s21, s22, s21
	s_addc_u32 s17, 0, s17
	s_mul_hi_u32 s23, s15, s20
	s_add_u32 s19, s21, s19
	s_mul_i32 s20, s15, s20
	s_addc_u32 s17, s17, s24
	s_addc_u32 s19, s23, 0
	s_add_u32 s17, s17, s20
	s_addc_u32 s19, 0, s19
	s_mul_hi_u32 s20, s10, s17
	s_mul_i32 s21, s10, s19
	s_mul_i32 s22, s11, s17
	s_add_i32 s20, s20, s21
	s_mul_i32 s21, s10, s17
	s_add_i32 s20, s20, s22
	s_sub_i32 s22, s15, s20
	s_sub_u32 s14, s14, s21
	s_cselect_b32 s21, -1, 0
	s_cmp_lg_u32 s21, 0
	s_subb_u32 s22, s22, s11
	s_sub_u32 s23, s14, s10
	s_cselect_b32 s24, -1, 0
	s_cmp_lg_u32 s24, 0
	s_subb_u32 s22, s22, 0
	s_cmp_ge_u32 s22, s11
	s_cselect_b32 s24, -1, 0
	s_cmp_ge_u32 s23, s10
	s_cselect_b32 s23, -1, 0
	s_cmp_eq_u32 s22, s11
	s_cselect_b32 s22, s23, s24
	s_add_u32 s23, s17, 1
	s_addc_u32 s24, s19, 0
	s_add_u32 s25, s17, 2
	s_addc_u32 s26, s19, 0
	s_cmp_lg_u32 s22, 0
	s_cselect_b32 s22, s25, s23
	s_cselect_b32 s23, s26, s24
	s_cmp_lg_u32 s21, 0
	s_subb_u32 s15, s15, s20
	s_cmp_ge_u32 s15, s11
	s_cselect_b32 s20, -1, 0
	s_cmp_ge_u32 s14, s10
	s_cselect_b32 s10, -1, 0
	s_cmp_eq_u32 s15, s11
	s_cselect_b32 s10, s10, s20
	s_cmp_lg_u32 s10, 0
	s_cselect_b32 s11, s23, s19
	s_cselect_b32 s10, s22, s17
	s_xor_b64 s[12:13], s[12:13], 0
	s_xor_b64 s[10:11], s[10:11], s[12:13]
	s_sub_u32 s10, s10, s12
	s_load_dwordx4 s[12:15], s[4:5], 0x44
	s_andn2_b32 vcc_lo, exec_lo, s16
	s_cbranch_vccnz .LBB8_3
.LBB8_2:
	v_cvt_f32_u32_e32 v1, s9
	s_sub_i32 s11, 0, s9
	v_rcp_iflag_f32_e32 v1, v1
	v_mul_f32_e32 v1, 0x4f7ffffe, v1
	v_cvt_u32_f32_e32 v1, v1
	v_readfirstlane_b32 s10, v1
	s_mul_i32 s11, s11, s10
	s_mul_hi_u32 s11, s10, s11
	s_add_i32 s10, s10, s11
	s_mul_hi_u32 s10, s18, s10
	s_mul_i32 s11, s10, s9
	s_waitcnt lgkmcnt(0)
	s_add_i32 s15, s10, 1
	s_sub_i32 s11, s18, s11
	s_sub_i32 s16, s11, s9
	s_cmp_ge_u32 s11, s9
	s_cselect_b32 s10, s15, s10
	s_cselect_b32 s11, s16, s11
	s_add_i32 s15, s10, 1
	s_cmp_ge_u32 s11, s9
	s_cselect_b32 s10, s15, s10
.LBB8_3:
	s_add_i32 s11, s6, 1
	s_mov_b32 s16, 0
	s_mul_hi_i32 s17, s3, s11
	s_mul_i32 s11, s3, s11
	s_cmp_lg_u64 s[16:17], 0
	s_cbranch_scc0 .LBB8_22
; %bb.4:
	s_add_u32 s18, s9, 0
	s_addc_u32 s19, 0, 0
	s_xor_b64 s[18:19], s[18:19], 0
	v_cvt_f32_u32_e32 v1, s18
	v_cvt_f32_u32_e32 v2, s19
	s_sub_u32 s21, 0, s18
	s_subb_u32 s22, 0, s19
	v_fmamk_f32 v1, v2, 0x4f800000, v1
	v_rcp_f32_e32 v1, v1
	v_mul_f32_e32 v1, 0x5f7ffffc, v1
	v_mul_f32_e32 v2, 0x2f800000, v1
	v_trunc_f32_e32 v2, v2
	v_fmamk_f32 v1, v2, 0xcf800000, v1
	v_cvt_u32_f32_e32 v2, v2
	v_cvt_u32_f32_e32 v1, v1
	s_waitcnt lgkmcnt(0)
	v_readfirstlane_b32 s15, v2
	v_readfirstlane_b32 s20, v1
	s_mul_i32 s23, s21, s15
	s_mul_hi_u32 s25, s21, s20
	s_mul_i32 s24, s22, s20
	s_add_i32 s23, s25, s23
	s_mul_i32 s26, s21, s20
	s_add_i32 s23, s23, s24
	s_mul_hi_u32 s25, s20, s26
	s_mul_i32 s28, s20, s23
	s_mul_hi_u32 s27, s15, s26
	s_mul_i32 s24, s15, s26
	s_mul_hi_u32 s26, s20, s23
	s_add_u32 s25, s25, s28
	s_addc_u32 s26, 0, s26
	s_mul_hi_u32 s29, s15, s23
	s_add_u32 s24, s25, s24
	s_mul_i32 s23, s15, s23
	s_addc_u32 s24, s26, s27
	s_addc_u32 s25, s29, 0
	s_add_u32 s23, s24, s23
	s_addc_u32 s24, 0, s25
	s_add_u32 s20, s20, s23
	s_cselect_b32 s23, -1, 0
	s_mul_hi_u32 s25, s21, s20
	s_cmp_lg_u32 s23, 0
	s_mul_i32 s23, s21, s20
	s_addc_u32 s15, s15, s24
	s_mul_i32 s22, s22, s20
	s_mul_i32 s21, s21, s15
	s_mul_hi_u32 s24, s20, s23
	s_add_i32 s21, s25, s21
	s_mul_hi_u32 s25, s15, s23
	s_add_i32 s21, s21, s22
	s_mul_i32 s22, s15, s23
	s_mul_i32 s27, s20, s21
	s_mul_hi_u32 s26, s20, s21
	s_add_u32 s24, s24, s27
	s_addc_u32 s26, 0, s26
	s_mul_hi_u32 s23, s15, s21
	s_add_u32 s22, s24, s22
	s_mul_i32 s21, s15, s21
	s_addc_u32 s22, s26, s25
	s_addc_u32 s23, s23, 0
	s_add_u32 s21, s22, s21
	s_addc_u32 s22, 0, s23
	s_add_u32 s24, s20, s21
	s_cselect_b32 s20, -1, 0
	s_cmp_lg_u32 s20, 0
	s_addc_u32 s15, s15, s22
	s_ashr_i32 s20, s17, 31
	s_add_u32 s22, s11, s20
	s_mov_b32 s21, s20
	s_addc_u32 s23, s17, s20
	s_xor_b64 s[22:23], s[22:23], s[20:21]
	s_mul_i32 s25, s22, s15
	s_mul_hi_u32 s26, s22, s24
	s_mul_hi_u32 s17, s22, s15
	;; [unrolled: 1-line block ×3, first 2 shown]
	s_mul_i32 s24, s23, s24
	s_add_u32 s25, s26, s25
	s_addc_u32 s17, 0, s17
	s_mul_hi_u32 s27, s23, s15
	s_add_u32 s24, s25, s24
	s_mul_i32 s15, s23, s15
	s_addc_u32 s17, s17, s28
	s_addc_u32 s24, s27, 0
	s_add_u32 s15, s17, s15
	s_addc_u32 s17, 0, s24
	s_mul_hi_u32 s24, s18, s15
	s_mul_i32 s25, s18, s17
	s_mul_i32 s26, s19, s15
	s_add_i32 s24, s24, s25
	s_mul_i32 s25, s18, s15
	s_add_i32 s24, s24, s26
	s_sub_i32 s26, s23, s24
	s_sub_u32 s22, s22, s25
	s_cselect_b32 s25, -1, 0
	s_cmp_lg_u32 s25, 0
	s_subb_u32 s26, s26, s19
	s_sub_u32 s27, s22, s18
	s_cselect_b32 s28, -1, 0
	s_cmp_lg_u32 s28, 0
	s_subb_u32 s26, s26, 0
	s_cmp_ge_u32 s26, s19
	s_cselect_b32 s28, -1, 0
	s_cmp_ge_u32 s27, s18
	s_cselect_b32 s27, -1, 0
	s_cmp_eq_u32 s26, s19
	s_cselect_b32 s26, s27, s28
	s_add_u32 s27, s15, 1
	s_addc_u32 s28, s17, 0
	s_add_u32 s29, s15, 2
	s_addc_u32 s30, s17, 0
	s_cmp_lg_u32 s26, 0
	s_cselect_b32 s26, s29, s27
	s_cselect_b32 s27, s30, s28
	s_cmp_lg_u32 s25, 0
	s_subb_u32 s23, s23, s24
	s_cmp_ge_u32 s23, s19
	s_cselect_b32 s24, -1, 0
	s_cmp_ge_u32 s22, s18
	s_cselect_b32 s18, -1, 0
	s_cmp_eq_u32 s23, s19
	s_cselect_b32 s18, s18, s24
	s_cmp_lg_u32 s18, 0
	s_cselect_b32 s19, s27, s17
	s_cselect_b32 s18, s26, s15
	s_xor_b64 s[20:21], s[20:21], 0
	s_xor_b64 s[18:19], s[18:19], s[20:21]
	s_sub_u32 s18, s18, s20
	s_andn2_b32 vcc_lo, exec_lo, s16
	s_cbranch_vccnz .LBB8_6
.LBB8_5:
	v_cvt_f32_u32_e32 v1, s9
	s_sub_i32 s16, 0, s9
	v_rcp_iflag_f32_e32 v1, v1
	v_mul_f32_e32 v1, 0x4f7ffffe, v1
	v_cvt_u32_f32_e32 v1, v1
	s_waitcnt lgkmcnt(0)
	v_readfirstlane_b32 s15, v1
	s_mul_i32 s16, s16, s15
	s_mul_hi_u32 s16, s15, s16
	s_add_i32 s15, s15, s16
	s_mul_hi_u32 s15, s11, s15
	s_mul_i32 s16, s15, s9
	s_sub_i32 s11, s11, s16
	s_add_i32 s16, s15, 1
	s_sub_i32 s17, s11, s9
	s_cmp_ge_u32 s11, s9
	s_cselect_b32 s15, s16, s15
	s_cselect_b32 s11, s17, s11
	s_add_i32 s16, s15, 1
	s_cmp_ge_u32 s11, s9
	s_cselect_b32 s18, s16, s15
.LBB8_6:
	s_cmp_eq_u32 s10, s18
	s_waitcnt lgkmcnt(0)
	s_mul_hi_u32 s11, s10, s12
	s_cselect_b32 s15, -1, 0
	s_add_i32 s11, s11, s10
	s_lshr_b32 s11, s11, s13
	s_mul_i32 s16, s11, s14
	s_cmp_eq_u32 s16, s10
	s_mul_hi_u32 s16, s18, s12
	s_cselect_b32 s17, -1, 0
	s_add_i32 s16, s16, s18
	s_lshr_b32 s16, s16, s13
	s_cmp_eq_u32 s11, s16
	s_mul_i32 s16, s16, s14
	s_cselect_b32 s19, -1, 0
	s_cmp_lg_u32 s16, s18
	s_cselect_b32 s16, -1, 0
	s_or_b32 s15, s15, s17
	s_and_b32 s16, s19, s16
	s_or_b32 s15, s15, s16
	s_and_b32 vcc_lo, exec_lo, s15
	s_cbranch_vccnz .LBB8_24
; %bb.7:
	s_load_dwordx8 s[16:23], s[4:5], 0x20
	s_waitcnt lgkmcnt(0)
	s_mul_hi_u32 s15, s10, s16
	s_load_dword s16, s[4:5], 0x40
	s_add_i32 s15, s15, s10
	s_lshr_b32 s15, s15, s17
	s_mul_i32 s17, s15, s18
	s_sub_i32 s17, s10, s17
	s_mul_hi_u32 s18, s17, s19
	s_add_i32 s18, s17, s18
	s_lshr_b32 s20, s18, s20
	s_mul_i32 s18, s20, s21
	s_sub_i32 s17, s17, s18
	s_mul_hi_u32 s18, s17, s22
	s_add_i32 s18, s17, s18
	s_lshr_b32 s18, s18, s23
	s_waitcnt lgkmcnt(0)
	s_mul_i32 s16, s18, s16
	s_lshl_b32 s22, s18, 4
	s_sub_i32 s16, s17, s16
	s_mul_hi_u32 s17, s16, s12
	s_add_i32 s16, s16, s17
	s_lshr_b32 s21, s16, s13
	s_add_i32 s21, s21, s7
	s_cmp_lt_i32 s21, s0
	s_cselect_b32 s16, -1, 0
	s_add_i32 s22, s22, s8
	s_cmp_lt_i32 s22, s2
	s_cselect_b32 s17, -1, 0
	s_and_b32 s16, s16, s17
	s_andn2_b32 vcc_lo, exec_lo, s16
	s_cbranch_vccnz .LBB8_24
; %bb.8:
	s_load_dwordx4 s[16:19], s[4:5], 0x0
	s_mov_b32 s4, 0
	s_lshl_b32 s24, s9, 6
	s_mov_b32 s25, s4
	s_mul_i32 s0, s15, s0
	s_lshl_b64 s[24:25], s[24:25], 2
	s_mul_i32 s20, s20, s2
	v_cvt_f32_u32_e32 v4, s9
	v_rcp_iflag_f32_e32 v4, v4
	s_waitcnt lgkmcnt(0)
	s_add_u32 s2, s18, s24
	s_addc_u32 s15, s19, s25
	s_add_i32 s0, s21, s0
	s_add_i32 s5, s22, s20
	s_mul_i32 s0, s0, s1
	v_mul_f32_e32 v4, 0x4f7ffffe, v4
	s_add_i32 s5, s5, s0
	s_add_i32 s0, s7, s6
	v_lshl_or_b32 v1, s5, 9, v0
	s_lshl_b32 s0, s0, 4
	v_lshl_or_b32 v0, s8, 9, v0
	s_add_i32 s0, s0, s8
	v_cvt_u32_f32_e32 v4, v4
	v_ashrrev_i32_e32 v2, 31, v1
	s_ashr_i32 s1, s0, 31
	s_lshl_b64 s[0:1], s[0:1], 3
	v_lshlrev_b64 v[1:2], 2, v[1:2]
	s_add_u32 s0, s18, s0
	s_addc_u32 s1, s19, s1
	s_add_i32 s20, s6, -1
	s_load_dwordx2 s[0:1], s[0:1], 0x0
	s_sub_i32 s6, 0, s9
	v_add_co_u32 v1, vcc_lo, s16, v1
	v_add_co_ci_u32_e64 v2, null, s17, v2, vcc_lo
	global_load_dword v3, v[1:2], off
	s_waitcnt lgkmcnt(0)
	v_mov_b32_e32 v5, s1
	v_mov_b32_e32 v6, s0
.LBB8_9:                                ; =>This Inner Loop Header: Depth=1
	s_mul_hi_i32 s5, s20, s3
	s_mul_i32 s16, s20, s3
	s_cmp_lg_u64 s[4:5], 0
	s_mov_b32 s17, -1
                                        ; implicit-def: $sgpr0_sgpr1
	s_cbranch_scc0 .LBB8_11
; %bb.10:                               ;   in Loop: Header=BB8_9 Depth=1
	s_add_u32 s0, s9, 0
	s_addc_u32 s1, 0, 0
	s_xor_b64 s[0:1], s[0:1], 0
	v_cvt_f32_u32_e32 v7, s0
	v_cvt_f32_u32_e32 v8, s1
	s_sub_u32 s22, 0, s0
	s_subb_u32 s23, 0, s1
	v_fmac_f32_e32 v7, 0x4f800000, v8
	v_rcp_f32_e32 v7, v7
	v_mul_f32_e32 v7, 0x5f7ffffc, v7
	v_mul_f32_e32 v8, 0x2f800000, v7
	v_trunc_f32_e32 v8, v8
	v_fmac_f32_e32 v7, 0xcf800000, v8
	v_cvt_u32_f32_e32 v8, v8
	v_cvt_u32_f32_e32 v7, v7
	v_readfirstlane_b32 s17, v8
	v_readfirstlane_b32 s21, v7
	s_mul_i32 s24, s22, s17
	s_mul_hi_u32 s26, s22, s21
	s_mul_i32 s25, s23, s21
	s_add_i32 s24, s26, s24
	s_mul_i32 s27, s22, s21
	s_add_i32 s24, s24, s25
	s_mul_hi_u32 s26, s21, s27
	s_mul_i32 s29, s21, s24
	s_mul_hi_u32 s28, s17, s27
	s_mul_i32 s25, s17, s27
	s_mul_hi_u32 s27, s21, s24
	s_add_u32 s26, s26, s29
	s_addc_u32 s27, 0, s27
	s_mul_hi_u32 s30, s17, s24
	s_add_u32 s25, s26, s25
	s_mul_i32 s24, s17, s24
	s_addc_u32 s25, s27, s28
	s_addc_u32 s26, s30, 0
	s_add_u32 s24, s25, s24
	s_addc_u32 s25, 0, s26
	s_add_u32 s21, s21, s24
	s_cselect_b32 s24, -1, 0
	s_mul_hi_u32 s26, s22, s21
	s_cmp_lg_u32 s24, 0
	s_mul_i32 s24, s22, s21
	s_addc_u32 s17, s17, s25
	s_mul_i32 s23, s23, s21
	s_mul_i32 s22, s22, s17
	s_mul_hi_u32 s25, s21, s24
	s_add_i32 s22, s26, s22
	s_mul_hi_u32 s26, s17, s24
	s_add_i32 s22, s22, s23
	s_mul_i32 s23, s17, s24
	s_mul_i32 s28, s21, s22
	s_mul_hi_u32 s27, s21, s22
	s_add_u32 s25, s25, s28
	s_addc_u32 s27, 0, s27
	s_mul_hi_u32 s24, s17, s22
	s_add_u32 s23, s25, s23
	s_mul_i32 s22, s17, s22
	s_addc_u32 s23, s27, s26
	s_addc_u32 s24, s24, 0
	s_add_u32 s22, s23, s22
	s_addc_u32 s23, 0, s24
	s_add_u32 s21, s21, s22
	s_cselect_b32 s22, -1, 0
	s_cmp_lg_u32 s22, 0
	s_addc_u32 s17, s17, s23
	s_ashr_i32 s22, s5, 31
	s_add_u32 s24, s16, s22
	s_mov_b32 s23, s22
	s_addc_u32 s25, s5, s22
	s_xor_b64 s[24:25], s[24:25], s[22:23]
	s_mul_i32 s26, s24, s17
	s_mul_hi_u32 s27, s24, s21
	s_mul_hi_u32 s5, s24, s17
	;; [unrolled: 1-line block ×3, first 2 shown]
	s_mul_i32 s21, s25, s21
	s_add_u32 s26, s27, s26
	s_addc_u32 s5, 0, s5
	s_mul_hi_u32 s28, s25, s17
	s_add_u32 s21, s26, s21
	s_mul_i32 s17, s25, s17
	s_addc_u32 s5, s5, s29
	s_addc_u32 s21, s28, 0
	s_add_u32 s5, s5, s17
	s_addc_u32 s17, 0, s21
	s_mul_hi_u32 s21, s0, s5
	s_mul_i32 s26, s0, s17
	s_mul_i32 s27, s1, s5
	s_add_i32 s21, s21, s26
	s_mul_i32 s26, s0, s5
	s_add_i32 s21, s21, s27
	s_sub_i32 s27, s25, s21
	s_sub_u32 s24, s24, s26
	s_cselect_b32 s26, -1, 0
	s_cmp_lg_u32 s26, 0
	s_subb_u32 s27, s27, s1
	s_sub_u32 s28, s24, s0
	s_cselect_b32 s29, -1, 0
	s_cmp_lg_u32 s29, 0
	s_subb_u32 s27, s27, 0
	s_cmp_ge_u32 s27, s1
	s_cselect_b32 s29, -1, 0
	s_cmp_ge_u32 s28, s0
	s_cselect_b32 s28, -1, 0
	s_cmp_eq_u32 s27, s1
	s_cselect_b32 s27, s28, s29
	s_add_u32 s28, s5, 1
	s_addc_u32 s29, s17, 0
	s_add_u32 s30, s5, 2
	s_addc_u32 s31, s17, 0
	s_cmp_lg_u32 s27, 0
	s_cselect_b32 s27, s30, s28
	s_cselect_b32 s28, s31, s29
	s_cmp_lg_u32 s26, 0
	s_subb_u32 s21, s25, s21
	s_cmp_ge_u32 s21, s1
	s_cselect_b32 s25, -1, 0
	s_cmp_ge_u32 s24, s0
	s_cselect_b32 s0, -1, 0
	s_cmp_eq_u32 s21, s1
	s_cselect_b32 s0, s0, s25
	s_cmp_lg_u32 s0, 0
	s_cselect_b32 s1, s28, s17
	s_cselect_b32 s0, s27, s5
	s_xor_b64 s[22:23], s[22:23], 0
	s_mov_b32 s17, 0
	s_xor_b64 s[0:1], s[0:1], s[22:23]
	s_sub_u32 s0, s0, s22
.LBB8_11:                               ;   in Loop: Header=BB8_9 Depth=1
	s_andn2_b32 vcc_lo, exec_lo, s17
	s_cbranch_vccnz .LBB8_13
; %bb.12:                               ;   in Loop: Header=BB8_9 Depth=1
	v_readfirstlane_b32 s0, v4
	s_mul_i32 s1, s6, s0
	s_mul_hi_u32 s1, s0, s1
	s_add_i32 s0, s0, s1
	s_mul_hi_u32 s0, s16, s0
	s_mul_i32 s1, s0, s9
	s_add_i32 s5, s0, 1
	s_sub_i32 s1, s16, s1
	s_sub_i32 s16, s1, s9
	s_cmp_ge_u32 s1, s9
	s_cselect_b32 s0, s5, s0
	s_cselect_b32 s1, s16, s1
	s_add_i32 s5, s0, 1
	s_cmp_ge_u32 s1, s9
	s_cselect_b32 s0, s5, s0
.LBB8_13:                               ;   in Loop: Header=BB8_9 Depth=1
	s_cmp_lg_u32 s10, s0
	s_mov_b32 s16, -1
                                        ; implicit-def: $sgpr5
                                        ; implicit-def: $vgpr8
                                        ; implicit-def: $vgpr7
                                        ; implicit-def: $vgpr9
                                        ; implicit-def: $sgpr1
                                        ; implicit-def: $sgpr21
	s_cbranch_scc0 .LBB8_18
; %bb.14:                               ;   in Loop: Header=BB8_9 Depth=1
	s_add_i32 s22, s20, s7
	s_mov_b32 s17, s4
	s_add_i32 s1, s22, s9
	s_mov_b32 s21, s10
	s_lshl_b32 s1, s1, 4
	s_add_i32 s16, s1, s8
	s_mul_hi_u32 s1, s0, s12
	s_lshl_b64 s[16:17], s[16:17], 3
	s_add_u32 s16, s18, s16
	s_addc_u32 s17, s19, s17
	s_add_i32 s1, s1, s0
	s_lshr_b32 s1, s1, s13
	s_mul_i32 s5, s1, s14
	s_cmp_eq_u32 s5, s0
	s_cselect_b32 s5, -1, 0
	s_cmp_lt_u32 s1, s11
	s_cselect_b32 s1, -1, 0
	s_or_b32 s1, s1, s5
	s_mov_b32 s5, -1
	s_and_b32 vcc_lo, exec_lo, s1
	s_mov_b32 s1, s20
	s_cbranch_vccnz .LBB8_16
; %bb.15:                               ;   in Loop: Header=BB8_9 Depth=1
	s_add_i32 s1, s20, -1
	s_mov_b32 s5, 0
	s_mov_b32 s21, s0
.LBB8_16:                               ;   in Loop: Header=BB8_9 Depth=1
	v_lshl_add_u32 v7, s22, 13, v0
	s_load_dwordx2 s[16:17], s[16:17], 0x0
	v_ashrrev_i32_e32 v8, 31, v7
	v_lshlrev_b64 v[7:8], 2, v[7:8]
	v_add_co_u32 v7, vcc_lo, s2, v7
	v_add_co_ci_u32_e64 v8, null, s15, v8, vcc_lo
	s_waitcnt lgkmcnt(0)
	v_max_f32_e64 v9, s16, s16
	global_load_dword v8, v[7:8], off
	v_max_f32_e32 v7, v6, v6
	v_max_f32_e32 v7, v7, v9
	v_sub_f32_e32 v9, s16, v7
	v_sub_f32_e32 v10, v6, v7
	v_mul_f32_e32 v11, 0x3fb8aa3b, v9
	v_mul_f32_e32 v12, 0x3fb8aa3b, v10
	v_cmp_ngt_f32_e32 vcc_lo, 0xc2ce8ed0, v9
	v_fma_f32 v13, 0x3fb8aa3b, v9, -v11
	v_rndne_f32_e32 v14, v11
	v_fma_f32 v15, 0x3fb8aa3b, v10, -v12
	v_rndne_f32_e32 v16, v12
	v_fmac_f32_e32 v13, 0x32a5705f, v9
	v_sub_f32_e32 v11, v11, v14
	v_fmac_f32_e32 v15, 0x32a5705f, v10
	v_sub_f32_e32 v12, v12, v16
	v_add_f32_e32 v11, v11, v13
	v_cvt_i32_f32_e32 v13, v14
	v_add_f32_e32 v12, v12, v15
	v_cvt_i32_f32_e32 v14, v16
	v_exp_f32_e32 v11, v11
	v_exp_f32_e32 v12, v12
	v_ldexp_f32 v11, v11, v13
	v_ldexp_f32 v12, v12, v14
	v_cndmask_b32_e32 v11, 0, v11, vcc_lo
	v_cmp_ngt_f32_e32 vcc_lo, 0xc2ce8ed0, v10
	v_cndmask_b32_e32 v12, 0, v12, vcc_lo
	v_cmp_nlt_f32_e32 vcc_lo, 0x42b17218, v9
	v_cndmask_b32_e32 v11, 0x7f800000, v11, vcc_lo
	v_cmp_nlt_f32_e32 vcc_lo, 0x42b17218, v10
	v_cndmask_b32_e32 v12, 0x7f800000, v12, vcc_lo
	v_cmp_le_f32_e32 vcc_lo, 0xc1a00000, v9
	v_cndmask_b32_e32 v9, 0, v11, vcc_lo
	v_cmp_le_f32_e32 vcc_lo, 0xc1a00000, v10
	v_cndmask_b32_e32 v10, 0, v12, vcc_lo
	s_waitcnt vmcnt(0)
	v_mul_f32_e32 v8, v8, v9
	v_mul_f32_e32 v9, s17, v9
	v_fmac_f32_e32 v8, v3, v10
	v_fmac_f32_e32 v9, v5, v10
	s_cbranch_execz .LBB8_19
.LBB8_17:                               ;   in Loop: Header=BB8_9 Depth=1
	s_andn2_b32 vcc_lo, exec_lo, s5
	s_cbranch_vccnz .LBB8_20
	s_branch .LBB8_23
.LBB8_18:                               ;   in Loop: Header=BB8_9 Depth=1
	s_andn2_b32 vcc_lo, exec_lo, s16
	s_cbranch_vccnz .LBB8_17
.LBB8_19:                               ;   in Loop: Header=BB8_9 Depth=1
	v_mov_b32_e32 v9, v5
	v_mov_b32_e32 v7, v6
	s_waitcnt vmcnt(0)
	v_mov_b32_e32 v8, v3
	s_add_i32 s1, s20, -1
	s_mov_b32 s21, s10
	s_cbranch_execz .LBB8_23
.LBB8_20:                               ;   in Loop: Header=BB8_9 Depth=1
	v_mov_b32_e32 v5, v9
	v_mov_b32_e32 v6, v7
	s_waitcnt vmcnt(0)
	v_mov_b32_e32 v3, v8
	s_mov_b32 s10, s21
	s_mov_b32 s20, s1
	s_branch .LBB8_9
.LBB8_21:
                                        ; implicit-def: $sgpr10_sgpr11
	s_load_dwordx4 s[12:15], s[4:5], 0x44
	s_branch .LBB8_2
.LBB8_22:
                                        ; implicit-def: $sgpr18_sgpr19
	s_branch .LBB8_5
.LBB8_23:
	v_div_scale_f32 v0, null, v9, v9, v8
	s_waitcnt vmcnt(0)
	v_rcp_f32_e32 v3, v0
	v_fma_f32 v4, -v0, v3, 1.0
	v_fmac_f32_e32 v3, v4, v3
	v_div_scale_f32 v4, vcc_lo, v8, v9, v8
	v_mul_f32_e32 v5, v4, v3
	v_fma_f32 v6, -v0, v5, v4
	v_fmac_f32_e32 v5, v6, v3
	v_fma_f32 v0, -v0, v5, v4
	v_div_fmas_f32 v0, v0, v3, v5
	v_div_fixup_f32 v0, v0, v9, v8
	global_store_dword v[1:2], v0, off
.LBB8_24:
	s_endpgm
	.section	.rodata,"a",@progbits
	.p2align	6, 0x0
	.amdhsa_kernel _ZL33flash_attn_stream_k_fixup_generalILi512ELi1ELi16EEvPfPK15HIP_vector_typeIfLj2EEiiiiS1_IjLj3EES5_S5_S5_
		.amdhsa_group_segment_fixed_size 0
		.amdhsa_private_segment_fixed_size 0
		.amdhsa_kernarg_size 336
		.amdhsa_user_sgpr_count 6
		.amdhsa_user_sgpr_private_segment_buffer 1
		.amdhsa_user_sgpr_dispatch_ptr 0
		.amdhsa_user_sgpr_queue_ptr 0
		.amdhsa_user_sgpr_kernarg_segment_ptr 1
		.amdhsa_user_sgpr_dispatch_id 0
		.amdhsa_user_sgpr_flat_scratch_init 0
		.amdhsa_user_sgpr_private_segment_size 0
		.amdhsa_wavefront_size32 1
		.amdhsa_uses_dynamic_stack 0
		.amdhsa_system_sgpr_private_segment_wavefront_offset 0
		.amdhsa_system_sgpr_workgroup_id_x 1
		.amdhsa_system_sgpr_workgroup_id_y 1
		.amdhsa_system_sgpr_workgroup_id_z 1
		.amdhsa_system_sgpr_workgroup_info 0
		.amdhsa_system_vgpr_workitem_id 0
		.amdhsa_next_free_vgpr 17
		.amdhsa_next_free_sgpr 32
		.amdhsa_reserve_vcc 1
		.amdhsa_reserve_flat_scratch 0
		.amdhsa_float_round_mode_32 0
		.amdhsa_float_round_mode_16_64 0
		.amdhsa_float_denorm_mode_32 3
		.amdhsa_float_denorm_mode_16_64 3
		.amdhsa_dx10_clamp 1
		.amdhsa_ieee_mode 1
		.amdhsa_fp16_overflow 0
		.amdhsa_workgroup_processor_mode 1
		.amdhsa_memory_ordered 1
		.amdhsa_forward_progress 1
		.amdhsa_shared_vgpr_count 0
		.amdhsa_exception_fp_ieee_invalid_op 0
		.amdhsa_exception_fp_denorm_src 0
		.amdhsa_exception_fp_ieee_div_zero 0
		.amdhsa_exception_fp_ieee_overflow 0
		.amdhsa_exception_fp_ieee_underflow 0
		.amdhsa_exception_fp_ieee_inexact 0
		.amdhsa_exception_int_div_zero 0
	.end_amdhsa_kernel
	.section	.text._ZL33flash_attn_stream_k_fixup_generalILi512ELi1ELi16EEvPfPK15HIP_vector_typeIfLj2EEiiiiS1_IjLj3EES5_S5_S5_,"axG",@progbits,_ZL33flash_attn_stream_k_fixup_generalILi512ELi1ELi16EEvPfPK15HIP_vector_typeIfLj2EEiiiiS1_IjLj3EES5_S5_S5_,comdat
.Lfunc_end8:
	.size	_ZL33flash_attn_stream_k_fixup_generalILi512ELi1ELi16EEvPfPK15HIP_vector_typeIfLj2EEiiiiS1_IjLj3EES5_S5_S5_, .Lfunc_end8-_ZL33flash_attn_stream_k_fixup_generalILi512ELi1ELi16EEvPfPK15HIP_vector_typeIfLj2EEiiiiS1_IjLj3EES5_S5_S5_
                                        ; -- End function
	.set _ZL33flash_attn_stream_k_fixup_generalILi512ELi1ELi16EEvPfPK15HIP_vector_typeIfLj2EEiiiiS1_IjLj3EES5_S5_S5_.num_vgpr, 17
	.set _ZL33flash_attn_stream_k_fixup_generalILi512ELi1ELi16EEvPfPK15HIP_vector_typeIfLj2EEiiiiS1_IjLj3EES5_S5_S5_.num_agpr, 0
	.set _ZL33flash_attn_stream_k_fixup_generalILi512ELi1ELi16EEvPfPK15HIP_vector_typeIfLj2EEiiiiS1_IjLj3EES5_S5_S5_.numbered_sgpr, 32
	.set _ZL33flash_attn_stream_k_fixup_generalILi512ELi1ELi16EEvPfPK15HIP_vector_typeIfLj2EEiiiiS1_IjLj3EES5_S5_S5_.num_named_barrier, 0
	.set _ZL33flash_attn_stream_k_fixup_generalILi512ELi1ELi16EEvPfPK15HIP_vector_typeIfLj2EEiiiiS1_IjLj3EES5_S5_S5_.private_seg_size, 0
	.set _ZL33flash_attn_stream_k_fixup_generalILi512ELi1ELi16EEvPfPK15HIP_vector_typeIfLj2EEiiiiS1_IjLj3EES5_S5_S5_.uses_vcc, 1
	.set _ZL33flash_attn_stream_k_fixup_generalILi512ELi1ELi16EEvPfPK15HIP_vector_typeIfLj2EEiiiiS1_IjLj3EES5_S5_S5_.uses_flat_scratch, 0
	.set _ZL33flash_attn_stream_k_fixup_generalILi512ELi1ELi16EEvPfPK15HIP_vector_typeIfLj2EEiiiiS1_IjLj3EES5_S5_S5_.has_dyn_sized_stack, 0
	.set _ZL33flash_attn_stream_k_fixup_generalILi512ELi1ELi16EEvPfPK15HIP_vector_typeIfLj2EEiiiiS1_IjLj3EES5_S5_S5_.has_recursion, 0
	.set _ZL33flash_attn_stream_k_fixup_generalILi512ELi1ELi16EEvPfPK15HIP_vector_typeIfLj2EEiiiiS1_IjLj3EES5_S5_S5_.has_indirect_call, 0
	.section	.AMDGPU.csdata,"",@progbits
; Kernel info:
; codeLenInByte = 2924
; TotalNumSgprs: 34
; NumVgprs: 17
; ScratchSize: 0
; MemoryBound: 0
; FloatMode: 240
; IeeeMode: 1
; LDSByteSize: 0 bytes/workgroup (compile time only)
; SGPRBlocks: 0
; VGPRBlocks: 2
; NumSGPRsForWavesPerEU: 34
; NumVGPRsForWavesPerEU: 17
; Occupancy: 16
; WaveLimiterHint : 0
; COMPUTE_PGM_RSRC2:SCRATCH_EN: 0
; COMPUTE_PGM_RSRC2:USER_SGPR: 6
; COMPUTE_PGM_RSRC2:TRAP_HANDLER: 0
; COMPUTE_PGM_RSRC2:TGID_X_EN: 1
; COMPUTE_PGM_RSRC2:TGID_Y_EN: 1
; COMPUTE_PGM_RSRC2:TGID_Z_EN: 1
; COMPUTE_PGM_RSRC2:TIDIG_COMP_CNT: 0
	.section	.text._ZL15flash_attn_tileILi576ELi512ELi8ELi4ELb0EEvPKcS1_S1_S1_S1_PKiPfP15HIP_vector_typeIfLj2EEffffjfiS5_IjLj3EEiiiiiiiiiiiliiliiiiil,"axG",@progbits,_ZL15flash_attn_tileILi576ELi512ELi8ELi4ELb0EEvPKcS1_S1_S1_S1_PKiPfP15HIP_vector_typeIfLj2EEffffjfiS5_IjLj3EEiiiiiiiiiiiliiliiiiil,comdat
	.globl	_ZL15flash_attn_tileILi576ELi512ELi8ELi4ELb0EEvPKcS1_S1_S1_S1_PKiPfP15HIP_vector_typeIfLj2EEffffjfiS5_IjLj3EEiiiiiiiiiiiliiliiiiil ; -- Begin function _ZL15flash_attn_tileILi576ELi512ELi8ELi4ELb0EEvPKcS1_S1_S1_S1_PKiPfP15HIP_vector_typeIfLj2EEffffjfiS5_IjLj3EEiiiiiiiiiiiliiliiiiil
	.p2align	8
	.type	_ZL15flash_attn_tileILi576ELi512ELi8ELi4ELb0EEvPKcS1_S1_S1_S1_PKiPfP15HIP_vector_typeIfLj2EEffffjfiS5_IjLj3EEiiiiiiiiiiiliiliiiiil,@function
_ZL15flash_attn_tileILi576ELi512ELi8ELi4ELb0EEvPKcS1_S1_S1_S1_PKiPfP15HIP_vector_typeIfLj2EEffffjfiS5_IjLj3EEiiiiiiiiiiiliiliiiiil: ; @_ZL15flash_attn_tileILi576ELi512ELi8ELi4ELb0EEvPKcS1_S1_S1_S1_PKiPfP15HIP_vector_typeIfLj2EEffffjfiS5_IjLj3EEiiiiiiiiiiiliiliiiiil
; %bb.0:
	s_clause 0x1
	s_load_dwordx4 s[0:3], s[4:5], 0x5c
	s_load_dwordx2 s[34:35], s[4:5], 0x80
	s_mov_b32 s28, s7
	s_mov_b64 s[36:37], 0
	s_waitcnt lgkmcnt(0)
	s_ashr_i32 s7, s3, 31
	s_lshr_b32 s7, s7, 30
	s_add_i32 s7, s3, s7
	s_ashr_i32 s7, s7, 2
	v_cvt_f32_u32_e32 v2, s7
	s_sub_i32 s10, 0, s7
	v_rcp_iflag_f32_e32 v2, v2
	v_mul_f32_e32 v2, 0x4f7ffffe, v2
	v_cvt_u32_f32_e32 v2, v2
	v_readfirstlane_b32 s9, v2
	s_mul_i32 s10, s10, s9
	s_mul_hi_u32 s10, s9, s10
	s_add_i32 s9, s9, s10
	s_mul_hi_u32 s9, s8, s9
	s_mul_i32 s10, s9, s7
	s_add_i32 s11, s9, 1
	s_sub_i32 s10, s8, s10
	s_sub_i32 s12, s10, s7
	s_cmp_ge_u32 s10, s7
	s_cselect_b32 s9, s11, s9
	s_cselect_b32 s10, s12, s10
	s_add_i32 s11, s9, 1
	s_cmp_ge_u32 s10, s7
	s_cselect_b32 s29, s11, s9
	s_abs_i32 s7, s35
	s_lshl_b32 s8, s8, 2
	v_cvt_f32_u32_e32 v2, s7
	s_sub_i32 s10, 0, s7
	s_mul_i32 s11, s29, s3
	s_abs_i32 s12, s3
	s_sub_i32 s30, s8, s11
	v_rcp_iflag_f32_e32 v2, v2
	v_mul_f32_e32 v2, 0x4f7ffffe, v2
	v_cvt_u32_f32_e32 v2, v2
	v_readfirstlane_b32 s9, v2
	s_mul_i32 s10, s10, s9
	s_mul_hi_u32 s10, s9, s10
	s_add_i32 s9, s9, s10
	s_mul_hi_u32 s8, s12, s9
	s_xor_b32 s9, s3, s35
	s_mul_i32 s10, s8, s7
	s_ashr_i32 s9, s9, 31
	s_sub_i32 s10, s12, s10
	s_add_i32 s11, s8, 1
	s_sub_i32 s12, s10, s7
	s_cmp_ge_u32 s10, s7
	s_cselect_b32 s8, s11, s8
	s_cselect_b32 s10, s12, s10
	s_add_i32 s11, s8, 1
	s_cmp_ge_u32 s10, s7
	s_cselect_b32 s7, s11, s8
	s_xor_b32 s7, s7, s9
	s_sub_i32 s31, s7, s9
	s_clause 0x1
	s_load_dwordx16 s[8:23], s[4:5], 0x0
	s_load_dwordx2 s[38:39], s[4:5], 0xb8
	s_abs_i32 s7, s31
	v_cvt_f32_u32_e32 v2, s7
	v_rcp_iflag_f32_e32 v2, v2
	v_mul_f32_e32 v2, 0x4f7ffffe, v2
	s_waitcnt lgkmcnt(0)
	s_cmp_eq_u64 s[14:15], 0
	v_cvt_u32_f32_e32 v2, v2
	v_readfirstlane_b32 s33, v2
	s_cbranch_scc1 .LBB9_2
; %bb.1:
	s_abs_i32 s26, s38
	s_abs_i32 s27, s29
	v_cvt_f32_u32_e32 v2, s26
	s_sub_i32 s25, 0, s26
	v_rcp_iflag_f32_e32 v2, v2
	v_mul_f32_e32 v2, 0x4f7ffffe, v2
	v_cvt_u32_f32_e32 v2, v2
	v_readfirstlane_b32 s24, v2
	s_mul_i32 s25, s25, s24
	s_mul_hi_u32 s25, s24, s25
	s_add_i32 s24, s24, s25
	s_mul_hi_u32 s35, s27, s24
	s_load_dwordx2 s[24:25], s[4:5], 0xc8
	s_mul_i32 s35, s35, s26
	s_sub_i32 s27, s27, s35
	s_ashr_i32 s35, s29, 31
	s_sub_i32 s36, s27, s26
	s_cmp_ge_u32 s27, s26
	s_cselect_b32 s27, s36, s27
	s_sub_i32 s36, s27, s26
	s_cmp_ge_u32 s27, s26
	s_cselect_b32 s26, s36, s27
	s_xor_b32 s26, s26, s35
	s_sub_i32 s26, s26, s35
	s_ashr_i32 s27, s26, 31
	s_waitcnt lgkmcnt(0)
	s_mul_hi_u32 s35, s24, s26
	s_mul_i32 s27, s24, s27
	s_mul_i32 s25, s25, s26
	s_add_i32 s27, s35, s27
	s_mul_i32 s24, s24, s26
	s_add_i32 s27, s27, s25
	s_add_u32 s36, s14, s24
	s_addc_u32 s37, s15, s27
.LBB9_2:
	v_lshl_add_u32 v17, s6, 3, v1
	s_load_dwordx4 s[24:27], s[4:5], 0x70
	v_lshlrev_b32_e32 v32, 3, v0
	v_mul_u32_u24_e32 v33, 0x1200, v1
	v_mul_hi_u32 v2, s0, v17
	v_mad_u32_u24 v15, 0x1200, v1, v32
	v_add_nc_u32_e32 v2, v17, v2
	v_lshrrev_b32_e32 v2, s1, v2
	s_waitcnt lgkmcnt(0)
	s_mul_i32 s1, s29, s26
	s_mul_i32 s14, s30, s25
	v_mul_lo_u32 v2, v2, s2
	s_ashr_i32 s15, s1, 31
	s_add_u32 s1, s8, s1
	s_addc_u32 s8, s9, s15
	s_ashr_i32 s9, s14, 31
	s_add_u32 s14, s1, s14
	s_mov_b32 s0, s24
	s_addc_u32 s15, s8, s9
	v_sub_nc_u32_e32 v6, v17, v2
	s_ashr_i32 s1, s24, 31
	s_lshr_b64 s[8:9], s[0:1], 2
	s_lshr_b32 s0, s1, 2
	v_mad_u64_u32 v[2:3], null, s8, v6, 0
	v_mad_u64_u32 v[3:4], null, s0, v6, v[3:4]
	v_lshlrev_b32_e32 v4, 4, v0
	v_lshlrev_b64 v[2:3], 2, v[2:3]
	v_add_co_u32 v2, vcc_lo, s14, v2
	v_add_co_ci_u32_e64 v3, null, s15, v3, vcc_lo
	s_load_dword s14, s[4:5], 0x40
	v_add_co_u32 v2, vcc_lo, v2, v4
	v_add_co_ci_u32_e64 v3, null, 0, v3, vcc_lo
	v_cmp_gt_u32_e32 vcc_lo, 16, v0
	s_clause 0x3
	global_load_dwordx4 v[7:10], v[2:3], off
	global_load_dwordx4 v[11:14], v[2:3], off offset:512
	global_load_dwordx4 v[18:21], v[2:3], off offset:1024
	;; [unrolled: 1-line block ×3, first 2 shown]
	s_waitcnt vmcnt(3) lgkmcnt(0)
	v_fma_mixlo_f16 v4, s14, v7, 0
	v_fma_mixlo_f16 v5, s14, v8, 0
	;; [unrolled: 1-line block ×4, first 2 shown]
	s_waitcnt vmcnt(2)
	v_fma_mixlo_f16 v9, s14, v11, 0
	v_fma_mixlo_f16 v10, s14, v12, 0
	;; [unrolled: 1-line block ×4, first 2 shown]
	s_waitcnt vmcnt(1)
	v_fma_mixlo_f16 v13, s14, v18, 0
	v_fma_mixlo_f16 v14, s14, v19, 0
	;; [unrolled: 1-line block ×3, first 2 shown]
	s_waitcnt vmcnt(0)
	v_fma_mixlo_f16 v19, s14, v22, 0
	v_fma_mixlo_f16 v20, s14, v23, 0
	v_lshlrev_b32_e32 v5, 16, v5
	v_and_b32_e32 v4, 0xffff, v4
	v_lshlrev_b32_e32 v8, 16, v8
	v_and_b32_e32 v7, 0xffff, v7
	;; [unrolled: 2-line block ×3, first 2 shown]
	v_fma_mixlo_f16 v18, s14, v21, 0
	v_fma_mixlo_f16 v21, s14, v24, 0
	;; [unrolled: 1-line block ×3, first 2 shown]
	v_lshlrev_b32_e32 v12, 16, v12
	v_and_b32_e32 v11, 0xffff, v11
	v_lshlrev_b32_e32 v14, 16, v14
	v_and_b32_e32 v13, 0xffff, v13
	v_lshlrev_b32_e32 v20, 16, v20
	v_and_b32_e32 v19, 0xffff, v19
	v_or_b32_e32 v4, v5, v4
	v_or3_b32 v5, v8, v7, 0
	v_or_b32_e32 v7, v10, v9
	v_lshlrev_b32_e32 v18, 16, v18
	v_and_b32_e32 v16, 0xffff, v16
	v_lshlrev_b32_e32 v22, 16, v22
	v_and_b32_e32 v21, 0xffff, v21
	v_or3_b32 v9, v12, v11, 0
	v_or_b32_e32 v10, v14, v13
	v_or_b32_e32 v12, v20, v19
	v_or3_b32 v4, 0, 0, v4
	v_or3_b32 v8, 0, 0, v7
	v_add_nc_u32_e32 v7, v32, v33
	v_or3_b32 v11, v18, v16, 0
	v_or3_b32 v13, v22, v21, 0
	;; [unrolled: 1-line block ×4, first 2 shown]
	ds_write2_b64 v15, v[4:5], v[8:9] offset1:32
	ds_write2_b64 v15, v[10:11], v[12:13] offset0:64 offset1:96
	s_and_saveexec_b32 s1, vcc_lo
	s_cbranch_execz .LBB9_4
; %bb.3:
	v_add_co_u32 v4, s0, 0x800, v2
	v_add_co_ci_u32_e64 v5, null, 0, v3, s0
	global_load_dwordx4 v[8:11], v[4:5], off
	s_waitcnt vmcnt(0)
	v_fma_mixlo_f16 v4, s14, v9, 0
	v_fma_mixlo_f16 v5, s14, v8, 0
	;; [unrolled: 1-line block ×4, first 2 shown]
	v_lshlrev_b32_e32 v4, 16, v4
	v_and_b32_e32 v5, 0xffff, v5
	v_and_b32_e32 v8, 0xffff, v8
	v_lshlrev_b32_e32 v9, 16, v9
	v_or_b32_e32 v4, v4, v5
	v_or3_b32 v5, v9, v8, 0
	v_or3_b32 v4, 0, 0, v4
	ds_write_b64 v7, v[4:5] offset:1024
.LBB9_4:
	s_or_b32 exec_lo, exec_lo, s1
	s_and_b32 s0, s25, -4
	s_ashr_i32 s1, s25, 31
	v_add_co_u32 v4, s0, v2, s0
	v_add_co_ci_u32_e64 v5, null, s1, v3, s0
	s_mov_b32 s0, s25
	s_clause 0x3
	global_load_dwordx4 v[8:11], v[4:5], off
	global_load_dwordx4 v[12:15], v[4:5], off offset:512
	global_load_dwordx4 v[18:21], v[4:5], off offset:1024
	;; [unrolled: 1-line block ×3, first 2 shown]
	s_lshr_b64 s[8:9], s[0:1], 2
	s_waitcnt vmcnt(3)
	v_fma_mixlo_f16 v8, s14, v8, 0
	v_fma_mixlo_f16 v9, s14, v9, 0
	v_fma_mixlo_f16 v10, s14, v10, 0
	v_fma_mixlo_f16 v11, s14, v11, 0
	s_waitcnt vmcnt(2)
	v_fma_mixlo_f16 v12, s14, v12, 0
	v_fma_mixlo_f16 v13, s14, v13, 0
	v_fma_mixlo_f16 v14, s14, v14, 0
	v_fma_mixlo_f16 v15, s14, v15, 0
	;; [unrolled: 5-line block ×3, first 2 shown]
	s_waitcnt vmcnt(0)
	v_fma_mixlo_f16 v21, s14, v22, 0
	v_fma_mixlo_f16 v22, s14, v23, 0
	v_lshlrev_b32_e32 v9, 16, v9
	v_and_b32_e32 v8, 0xffff, v8
	v_lshlrev_b32_e32 v11, 16, v11
	v_and_b32_e32 v10, 0xffff, v10
	;; [unrolled: 2-line block ×3, first 2 shown]
	v_fma_mixlo_f16 v23, s14, v24, 0
	v_fma_mixlo_f16 v24, s14, v25, 0
	v_lshlrev_b32_e32 v15, 16, v15
	v_and_b32_e32 v14, 0xffff, v14
	v_lshlrev_b32_e32 v18, 16, v18
	v_and_b32_e32 v16, 0xffff, v16
	v_lshlrev_b32_e32 v22, 16, v22
	v_and_b32_e32 v21, 0xffff, v21
	v_or_b32_e32 v8, v9, v8
	v_or3_b32 v9, v11, v10, 0
	v_or_b32_e32 v10, v13, v12
	v_lshlrev_b32_e32 v20, 16, v20
	v_and_b32_e32 v19, 0xffff, v19
	v_lshlrev_b32_e32 v24, 16, v24
	v_and_b32_e32 v23, 0xffff, v23
	v_or3_b32 v11, v15, v14, 0
	v_or_b32_e32 v12, v18, v16
	v_or_b32_e32 v14, v22, v21
	v_or3_b32 v8, 0, 0, v8
	v_or3_b32 v10, 0, 0, v10
	;; [unrolled: 1-line block ×6, first 2 shown]
	ds_write2_b64 v7, v[8:9], v[10:11] offset0:144 offset1:176
	ds_write2_b64 v7, v[12:13], v[14:15] offset0:208 offset1:240
	s_and_saveexec_b32 s1, vcc_lo
	s_cbranch_execz .LBB9_6
; %bb.5:
	v_add_co_u32 v4, s0, 0x800, v4
	v_add_co_ci_u32_e64 v5, null, 0, v5, s0
	global_load_dwordx4 v[8:11], v[4:5], off
	s_waitcnt vmcnt(0)
	v_fma_mixlo_f16 v4, s14, v9, 0
	v_fma_mixlo_f16 v5, s14, v8, 0
	;; [unrolled: 1-line block ×4, first 2 shown]
	v_lshlrev_b32_e32 v4, 16, v4
	v_and_b32_e32 v5, 0xffff, v5
	v_and_b32_e32 v8, 0xffff, v8
	v_lshlrev_b32_e32 v9, 16, v9
	v_or_b32_e32 v4, v4, v5
	v_or3_b32 v5, v9, v8, 0
	v_or3_b32 v4, 0, 0, v4
	ds_write_b64 v7, v[4:5] offset:2176
.LBB9_6:
	s_or_b32 exec_lo, exec_lo, s1
	s_lshl_b64 s[0:1], s[8:9], 3
	v_add_nc_u32_e32 v8, 0x800, v7
	v_add_co_u32 v4, s0, v2, s0
	v_add_co_ci_u32_e64 v5, null, s1, v3, s0
	s_clause 0x3
	global_load_dwordx4 v[9:12], v[4:5], off
	global_load_dwordx4 v[13:16], v[4:5], off offset:512
	global_load_dwordx4 v[18:21], v[4:5], off offset:1024
	global_load_dwordx4 v[22:25], v[4:5], off offset:1536
	s_waitcnt vmcnt(3)
	v_fma_mixlo_f16 v9, s14, v9, 0
	v_fma_mixlo_f16 v10, s14, v10, 0
	;; [unrolled: 1-line block ×4, first 2 shown]
	s_waitcnt vmcnt(2)
	v_fma_mixlo_f16 v13, s14, v13, 0
	v_fma_mixlo_f16 v14, s14, v14, 0
	;; [unrolled: 1-line block ×4, first 2 shown]
	s_waitcnt vmcnt(1)
	v_fma_mixlo_f16 v18, s14, v18, 0
	v_fma_mixlo_f16 v19, s14, v19, 0
	s_waitcnt vmcnt(0)
	v_fma_mixlo_f16 v22, s14, v22, 0
	v_fma_mixlo_f16 v23, s14, v23, 0
	v_lshlrev_b32_e32 v10, 16, v10
	v_and_b32_e32 v9, 0xffff, v9
	v_lshlrev_b32_e32 v12, 16, v12
	v_and_b32_e32 v11, 0xffff, v11
	;; [unrolled: 2-line block ×3, first 2 shown]
	v_fma_mixlo_f16 v20, s14, v20, 0
	v_fma_mixlo_f16 v21, s14, v21, 0
	;; [unrolled: 1-line block ×4, first 2 shown]
	v_lshlrev_b32_e32 v16, 16, v16
	v_and_b32_e32 v15, 0xffff, v15
	v_lshlrev_b32_e32 v19, 16, v19
	v_and_b32_e32 v18, 0xffff, v18
	;; [unrolled: 2-line block ×3, first 2 shown]
	v_or_b32_e32 v9, v10, v9
	v_or3_b32 v10, v12, v11, 0
	v_or_b32_e32 v11, v14, v13
	v_lshlrev_b32_e32 v21, 16, v21
	v_and_b32_e32 v20, 0xffff, v20
	v_lshlrev_b32_e32 v25, 16, v25
	v_and_b32_e32 v24, 0xffff, v24
	v_or3_b32 v12, v16, v15, 0
	v_or_b32_e32 v13, v19, v18
	v_or_b32_e32 v15, v23, v22
	v_or3_b32 v9, 0, 0, v9
	v_or3_b32 v11, 0, 0, v11
	;; [unrolled: 1-line block ×6, first 2 shown]
	ds_write2_b64 v8, v[9:10], v[11:12] offset0:32 offset1:64
	ds_write2_b64 v8, v[13:14], v[15:16] offset0:96 offset1:128
	s_and_saveexec_b32 s1, vcc_lo
	s_cbranch_execz .LBB9_8
; %bb.7:
	v_add_co_u32 v4, s0, 0x800, v4
	v_add_co_ci_u32_e64 v5, null, 0, v5, s0
	global_load_dwordx4 v[9:12], v[4:5], off
	s_waitcnt vmcnt(0)
	v_fma_mixlo_f16 v4, s14, v10, 0
	v_fma_mixlo_f16 v5, s14, v9, 0
	;; [unrolled: 1-line block ×4, first 2 shown]
	v_lshlrev_b32_e32 v4, 16, v4
	v_and_b32_e32 v5, 0xffff, v5
	v_and_b32_e32 v9, 0xffff, v9
	v_lshlrev_b32_e32 v10, 16, v10
	v_or_b32_e32 v4, v4, v5
	v_or3_b32 v5, v10, v9, 0
	v_or3_b32 v4, 0, 0, v4
	ds_write_b64 v7, v[4:5] offset:3328
.LBB9_8:
	s_or_b32 exec_lo, exec_lo, s1
	v_mad_u64_u32 v[2:3], null, s8, 12, v[2:3]
	v_add_nc_u32_e32 v26, 0xc00, v7
	v_mad_u64_u32 v[3:4], null, s9, 12, v[3:4]
	s_clause 0x3
	global_load_dwordx4 v[9:12], v[2:3], off
	global_load_dwordx4 v[13:16], v[2:3], off offset:512
	global_load_dwordx4 v[18:21], v[2:3], off offset:1024
	;; [unrolled: 1-line block ×3, first 2 shown]
	s_waitcnt vmcnt(3)
	v_fma_mixlo_f16 v4, s14, v9, 0
	v_fma_mixlo_f16 v5, s14, v10, 0
	v_fma_mixlo_f16 v9, s14, v11, 0
	v_fma_mixlo_f16 v10, s14, v12, 0
	s_waitcnt vmcnt(2)
	v_fma_mixlo_f16 v11, s14, v13, 0
	v_fma_mixlo_f16 v12, s14, v14, 0
	v_fma_mixlo_f16 v13, s14, v15, 0
	v_fma_mixlo_f16 v14, s14, v16, 0
	;; [unrolled: 5-line block ×3, first 2 shown]
	s_waitcnt vmcnt(0)
	v_fma_mixlo_f16 v20, s14, v22, 0
	v_fma_mixlo_f16 v21, s14, v23, 0
	v_lshlrev_b32_e32 v5, 16, v5
	v_and_b32_e32 v4, 0xffff, v4
	v_lshlrev_b32_e32 v10, 16, v10
	v_and_b32_e32 v9, 0xffff, v9
	;; [unrolled: 2-line block ×3, first 2 shown]
	v_fma_mixlo_f16 v22, s14, v24, 0
	v_fma_mixlo_f16 v23, s14, v25, 0
	v_lshlrev_b32_e32 v14, 16, v14
	v_and_b32_e32 v13, 0xffff, v13
	v_lshlrev_b32_e32 v16, 16, v16
	v_and_b32_e32 v15, 0xffff, v15
	;; [unrolled: 2-line block ×3, first 2 shown]
	v_or_b32_e32 v4, v5, v4
	v_or3_b32 v5, v10, v9, 0
	v_or_b32_e32 v9, v12, v11
	v_lshlrev_b32_e32 v19, 16, v19
	v_and_b32_e32 v18, 0xffff, v18
	v_lshlrev_b32_e32 v23, 16, v23
	v_and_b32_e32 v22, 0xffff, v22
	v_or3_b32 v10, v14, v13, 0
	v_or_b32_e32 v11, v16, v15
	v_or_b32_e32 v13, v21, v20
	v_or3_b32 v4, 0, 0, v4
	v_or3_b32 v9, 0, 0, v9
	;; [unrolled: 1-line block ×6, first 2 shown]
	ds_write2_b64 v8, v[4:5], v[9:10] offset0:176 offset1:208
	ds_write2_b64 v26, v[11:12], v[13:14] offset0:112 offset1:144
	s_and_saveexec_b32 s0, vcc_lo
	s_cbranch_execz .LBB9_10
; %bb.9:
	v_add_co_u32 v2, vcc_lo, 0x800, v2
	v_add_co_ci_u32_e64 v3, null, 0, v3, vcc_lo
	global_load_dwordx4 v[2:5], v[2:3], off
	s_waitcnt vmcnt(0)
	v_fma_mixlo_f16 v3, s14, v3, 0
	v_fma_mixlo_f16 v2, s14, v2, 0
	;; [unrolled: 1-line block ×4, first 2 shown]
	v_lshlrev_b32_e32 v3, 16, v3
	v_and_b32_e32 v2, 0xffff, v2
	v_and_b32_e32 v4, 0xffff, v4
	v_lshlrev_b32_e32 v5, 16, v5
	v_or_b32_e32 v2, v3, v2
	v_or3_b32 v3, v5, v4, 0
	v_or3_b32 v2, 0, 0, v2
	ds_write_b64 v7, v[2:3] offset:4480
.LBB9_10:
	s_or_b32 exec_lo, exec_lo, s0
	s_cmp_eq_u64 s[18:19], 0
	s_waitcnt lgkmcnt(0)
	s_barrier
	buffer_gl0_inv
	s_cbranch_scc1 .LBB9_12
; %bb.11:
	s_load_dword s0, s[4:5], 0xd0
	s_mov_b32 s1, 0
	s_waitcnt lgkmcnt(0)
	s_mul_i32 s0, s0, s29
	s_add_i32 s0, s0, s6
	s_lshl_b64 s[0:1], s[0:1], 2
	s_add_u32 s0, s18, s0
	s_addc_u32 s1, s19, s1
	s_load_dword s34, s[0:1], 0x0
.LBB9_12:
	v_lshlrev_b32_e32 v31, 2, v0
	v_mbcnt_lo_u32_b32 v34, -1, 0
	s_lshl_b32 s8, s28, 7
	s_waitcnt lgkmcnt(0)
	s_cmp_lt_i32 s8, s34
	s_cbranch_scc1 .LBB9_15
; %bb.13:
	v_mbcnt_lo_u32_b32 v7, -1, 0
	v_mov_b32_e32 v5, 32
	v_xor_b32_e32 v9, 16, v7
	v_xor_b32_e32 v10, 8, v7
	;; [unrolled: 1-line block ×5, first 2 shown]
	s_mov_b32 s1, 0
	s_cbranch_execz .LBB9_16
; %bb.14:
	v_mov_b32_e32 v71, 0
	v_mov_b32_e32 v16, 0
	;; [unrolled: 1-line block ×40, first 2 shown]
	s_branch .LBB9_24
.LBB9_15:
                                        ; implicit-def: $vgpr7
                                        ; implicit-def: $vgpr5
                                        ; implicit-def: $vgpr9
                                        ; implicit-def: $vgpr10
                                        ; implicit-def: $vgpr11
                                        ; implicit-def: $vgpr12
                                        ; implicit-def: $vgpr13
	s_mov_b32 s1, 0
.LBB9_16:
	s_clause 0x1
	s_load_dwordx4 s[24:27], s[4:5], 0x98
	s_load_dwordx2 s[14:15], s[4:5], 0x8c
	s_sub_i32 s0, 0, s7
	s_ashr_i32 s38, s29, 31
	s_mul_i32 s0, s0, s33
	s_abs_i32 s6, s30
	s_mul_hi_u32 s0, s33, s0
	s_ashr_i32 s35, s30, 31
	s_add_i32 s33, s33, s0
	s_ashr_i32 s31, s31, 31
	s_mul_hi_u32 s33, s6, s33
	s_load_dwordx2 s[18:19], s[4:5], 0xa8
	s_ashr_i32 s0, s39, 1
	s_mul_i32 s39, s33, s7
	v_lshrrev_b32_e32 v2, 3, v0
	v_and_b32_e32 v15, 28, v31
	v_lshlrev_b32_e32 v12, 10, v1
	v_mov_b32_e32 v47, 0
	v_mov_b32_e32 v87, 0xfeffffff
	v_lshl_add_u32 v3, v1, 2, v2
	s_waitcnt lgkmcnt(0)
	s_ashr_i32 s9, s26, 2
	s_mul_hi_u32 s26, s24, s29
	s_mul_i32 s40, s24, s38
	s_mul_i32 s25, s25, s29
	s_add_i32 s26, s26, s40
	s_mul_i32 s24, s24, s29
	s_ashr_i32 s14, s14, 2
	s_add_i32 s26, s26, s25
	s_add_u32 s10, s10, s24
	s_addc_u32 s11, s11, s26
	s_sub_i32 s6, s6, s39
	s_xor_b32 s24, s35, s31
	s_add_i32 s25, s33, 1
	s_sub_i32 s26, s6, s7
	s_cmp_ge_u32 s6, s7
	s_mul_i32 s19, s19, s29
	s_cselect_b32 s25, s25, s33
	s_cselect_b32 s6, s26, s6
	s_add_i32 s26, s25, 1
	s_cmp_ge_u32 s6, s7
	s_mul_hi_u32 s7, s18, s29
	s_cselect_b32 s6, s26, s25
	v_mul_lo_u32 v2, s14, v3
	s_xor_b32 s6, s6, s24
	v_lshlrev_b32_e32 v4, 2, v15
	s_sub_i32 s6, s6, s24
	s_mul_i32 s24, s18, s38
	s_mul_i32 s15, s6, s15
	;; [unrolled: 1-line block ×3, first 2 shown]
	s_ashr_i32 s25, s15, 31
	s_add_u32 s10, s10, s15
	s_addc_u32 s11, s11, s25
	s_add_i32 s7, s7, s24
	s_mul_i32 s15, s18, s29
	s_add_i32 s7, s7, s19
	s_add_u32 s12, s12, s15
	s_addc_u32 s7, s13, s7
	s_ashr_i32 s13, s6, 31
	s_add_u32 s12, s12, s6
	s_addc_u32 s13, s7, s13
	s_lshl_b32 s6, s14, 5
	v_mad_u32_u24 v10, 0x90, v3, v4
	v_add_nc_u32_e32 v4, s6, v2
	v_mul_lo_u32 v11, s9, v1
	v_lshl_add_u32 v1, v31, 2, v12
	v_ashrrev_i32_e32 v3, 31, v2
	v_add_nc_u32_e32 v35, 0x9000, v10
	v_add_nc_u32_e32 v7, s6, v4
	;; [unrolled: 1-line block ×3, first 2 shown]
	v_ashrrev_i32_e32 v5, 31, v4
	v_add_nc_u32_e32 v37, 0xb400, v10
	v_lshl_add_u32 v13, s9, 3, v11
	v_add_nc_u32_e32 v9, s6, v7
	v_ashrrev_i32_e32 v8, 31, v7
	v_add_nc_u32_e32 v38, 0xc600, v10
	v_add_nc_u32_e32 v40, 0xd800, v12
	v_ashrrev_i32_e32 v12, 31, v11
	v_ashrrev_i32_e32 v10, 31, v9
	;; [unrolled: 1-line block ×3, first 2 shown]
	v_mad_u64_u32 v[18:19], null, v6, s0, v[0:1]
	s_mov_b32 s7, 0x9000
	v_lshlrev_b64 v[19:20], 2, v[2:3]
	v_lshlrev_b64 v[21:22], 2, v[4:5]
	;; [unrolled: 1-line block ×6, first 2 shown]
	v_mad_u32_u24 v39, 0x90, v0, s7
	v_add_nc_u32_e32 v41, 0x9000, v1
	v_add_nc_u32_e32 v42, 0x9200, v1
	;; [unrolled: 1-line block ×4, first 2 shown]
	v_lshlrev_b32_e32 v45, 2, v15
	v_mov_b32_e32 v46, 0x10001
	v_mov_b32_e32 v48, 0
	;; [unrolled: 1-line block ×39, first 2 shown]
	s_add_u32 s6, s4, 0xd0
	s_addc_u32 s7, s5, 0
.LBB9_17:                               ; =>This Loop Header: Depth=1
                                        ;     Child Loop BB9_19 Depth 2
	s_mul_hi_i32 s19, s8, s14
	s_mul_i32 s18, s8, s14
	v_mov_b32_e32 v94, 0
	s_lshl_b64 s[18:19], s[18:19], 2
	v_mov_b32_e32 v91, 0
	v_mov_b32_e32 v80, 0
	;; [unrolled: 1-line block ×15, first 2 shown]
	s_add_u32 s15, s10, s18
	s_addc_u32 s18, s11, s19
	s_mov_b32 s19, 0
	s_branch .LBB9_19
.LBB9_18:                               ;   in Loop: Header=BB9_19 Depth=2
	s_andn2_b32 vcc_lo, exec_lo, s0
	s_cbranch_vccz .LBB9_21
.LBB9_19:                               ;   Parent Loop BB9_17 Depth=1
                                        ; =>  This Inner Loop Header: Depth=2
	s_lshr_b32 s0, s19, 1
	v_lshl_add_u32 v86, s19, 1, v33
	s_lshl_b64 s[24:25], s[0:1], 2
	s_add_u32 s0, s15, s24
	s_addc_u32 s24, s18, s25
	v_add_co_u32 v1, vcc_lo, s0, v19
	v_add_co_ci_u32_e64 v2, null, s24, v20, vcc_lo
	v_add_co_u32 v3, vcc_lo, s0, v21
	v_add_co_ci_u32_e64 v4, null, s24, v22, vcc_lo
	;; [unrolled: 2-line block ×8, first 2 shown]
	s_clause 0x3
	global_load_dwordx4 v[1:4], v[1:2], off
	global_load_dwordx4 v[5:8], v[5:6], off
	;; [unrolled: 1-line block ×4, first 2 shown]
	s_add_i32 s24, s19, 64
	s_waitcnt vmcnt(3)
	ds_write_b128 v35, v[1:4]
	s_waitcnt vmcnt(2)
	ds_write_b128 v36, v[5:8]
	;; [unrolled: 2-line block ×4, first 2 shown]
	s_waitcnt lgkmcnt(0)
	s_barrier
	buffer_gl0_inv
	ds_read_b128 v[1:4], v39
	ds_read_b128 v[5:8], v86
	ds_read_b128 v[9:12], v86 offset:1152
	ds_read_b128 v[13:16], v86 offset:2304
	;; [unrolled: 1-line block ×6, first 2 shown]
	s_waitcnt lgkmcnt(6)
	;;#ASMSTART
	v_dot2_f32_f16 v94, v1, v5, v94
	;;#ASMEND
	;;#ASMSTART
	v_dot2_f32_f16 v94, v2, v6, v94
	;;#ASMEND
	;;#ASMSTART
	v_dot2_f32_f16 v94, v3, v7, v94
	;;#ASMEND
	;;#ASMSTART
	v_dot2_f32_f16 v94, v4, v8, v94
	;;#ASMEND
	s_waitcnt lgkmcnt(5)
	;;#ASMSTART
	v_dot2_f32_f16 v91, v1, v9, v91
	;;#ASMEND
	;;#ASMSTART
	v_dot2_f32_f16 v91, v2, v10, v91
	;;#ASMEND
	;;#ASMSTART
	v_dot2_f32_f16 v91, v3, v11, v91
	;;#ASMEND
	;;#ASMSTART
	v_dot2_f32_f16 v91, v4, v12, v91
	;;#ASMEND
	;; [unrolled: 13-line block ×5, first 2 shown]
	;;#ASMSTART
	v_dot2_f32_f16 v95, v108, v9, v95
	;;#ASMEND
	;;#ASMSTART
	v_dot2_f32_f16 v95, v109, v10, v95
	;;#ASMEND
	;; [unrolled: 3-line block ×12, first 2 shown]
	s_waitcnt lgkmcnt(1)
	;;#ASMSTART
	v_dot2_f32_f16 v101, v112, v5, v101
	;;#ASMEND
	;;#ASMSTART
	v_dot2_f32_f16 v101, v113, v6, v101
	;;#ASMEND
	;; [unrolled: 3-line block ×16, first 2 shown]
	s_waitcnt lgkmcnt(0)
	;;#ASMSTART
	v_dot2_f32_f16 v103, v116, v5, v103
	;;#ASMEND
	;;#ASMSTART
	v_dot2_f32_f16 v103, v117, v6, v103
	;;#ASMEND
	;; [unrolled: 3-line block ×16, first 2 shown]
	ds_read_b128 v[1:4], v39 offset:16
	ds_read_b128 v[5:8], v86 offset:16
	;; [unrolled: 1-line block ×8, first 2 shown]
	s_waitcnt lgkmcnt(6)
	;;#ASMSTART
	v_dot2_f32_f16 v94, v1, v5, v94
	;;#ASMEND
	;;#ASMSTART
	v_dot2_f32_f16 v94, v2, v6, v94
	;;#ASMEND
	;;#ASMSTART
	v_dot2_f32_f16 v94, v3, v7, v94
	;;#ASMEND
	;;#ASMSTART
	v_dot2_f32_f16 v94, v4, v8, v94
	;;#ASMEND
	s_waitcnt lgkmcnt(5)
	;;#ASMSTART
	v_dot2_f32_f16 v91, v1, v9, v91
	;;#ASMEND
	;;#ASMSTART
	v_dot2_f32_f16 v91, v2, v10, v91
	;;#ASMEND
	;;#ASMSTART
	v_dot2_f32_f16 v91, v3, v11, v91
	;;#ASMEND
	;;#ASMSTART
	v_dot2_f32_f16 v91, v4, v12, v91
	;;#ASMEND
	;; [unrolled: 13-line block ×5, first 2 shown]
	;;#ASMSTART
	v_dot2_f32_f16 v95, v108, v9, v95
	;;#ASMEND
	;;#ASMSTART
	v_dot2_f32_f16 v95, v109, v10, v95
	;;#ASMEND
	;; [unrolled: 3-line block ×12, first 2 shown]
	s_waitcnt lgkmcnt(1)
	;;#ASMSTART
	v_dot2_f32_f16 v101, v112, v5, v101
	;;#ASMEND
	;;#ASMSTART
	v_dot2_f32_f16 v101, v113, v6, v101
	;;#ASMEND
	;; [unrolled: 3-line block ×16, first 2 shown]
	s_waitcnt lgkmcnt(0)
	;;#ASMSTART
	v_dot2_f32_f16 v103, v116, v5, v103
	;;#ASMEND
	;;#ASMSTART
	v_dot2_f32_f16 v103, v117, v6, v103
	;;#ASMEND
	;; [unrolled: 3-line block ×16, first 2 shown]
	ds_read_b128 v[1:4], v39 offset:32
	ds_read_b128 v[5:8], v86 offset:32
	;; [unrolled: 1-line block ×8, first 2 shown]
	s_waitcnt lgkmcnt(6)
	;;#ASMSTART
	v_dot2_f32_f16 v94, v1, v5, v94
	;;#ASMEND
	;;#ASMSTART
	v_dot2_f32_f16 v94, v2, v6, v94
	;;#ASMEND
	;;#ASMSTART
	v_dot2_f32_f16 v94, v3, v7, v94
	;;#ASMEND
	;;#ASMSTART
	v_dot2_f32_f16 v94, v4, v8, v94
	;;#ASMEND
	s_waitcnt lgkmcnt(5)
	;;#ASMSTART
	v_dot2_f32_f16 v91, v1, v9, v91
	;;#ASMEND
	;;#ASMSTART
	v_dot2_f32_f16 v91, v2, v10, v91
	;;#ASMEND
	;;#ASMSTART
	v_dot2_f32_f16 v91, v3, v11, v91
	;;#ASMEND
	;;#ASMSTART
	v_dot2_f32_f16 v91, v4, v12, v91
	;;#ASMEND
	;; [unrolled: 13-line block ×5, first 2 shown]
	;;#ASMSTART
	v_dot2_f32_f16 v95, v108, v9, v95
	;;#ASMEND
	;;#ASMSTART
	v_dot2_f32_f16 v95, v109, v10, v95
	;;#ASMEND
	;; [unrolled: 3-line block ×12, first 2 shown]
	s_waitcnt lgkmcnt(1)
	;;#ASMSTART
	v_dot2_f32_f16 v101, v112, v5, v101
	;;#ASMEND
	;;#ASMSTART
	v_dot2_f32_f16 v101, v113, v6, v101
	;;#ASMEND
	;; [unrolled: 3-line block ×16, first 2 shown]
	s_waitcnt lgkmcnt(0)
	;;#ASMSTART
	v_dot2_f32_f16 v103, v116, v5, v103
	;;#ASMEND
	;;#ASMSTART
	v_dot2_f32_f16 v103, v117, v6, v103
	;;#ASMEND
	;; [unrolled: 3-line block ×16, first 2 shown]
	ds_read_b128 v[1:4], v39 offset:48
	ds_read_b128 v[5:8], v86 offset:48
	;; [unrolled: 1-line block ×8, first 2 shown]
	s_waitcnt lgkmcnt(6)
	;;#ASMSTART
	v_dot2_f32_f16 v94, v1, v5, v94
	;;#ASMEND
	;;#ASMSTART
	v_dot2_f32_f16 v94, v2, v6, v94
	;;#ASMEND
	;;#ASMSTART
	v_dot2_f32_f16 v94, v3, v7, v94
	;;#ASMEND
	;;#ASMSTART
	v_dot2_f32_f16 v94, v4, v8, v94
	;;#ASMEND
	s_waitcnt lgkmcnt(5)
	;;#ASMSTART
	v_dot2_f32_f16 v91, v1, v9, v91
	;;#ASMEND
	;;#ASMSTART
	v_dot2_f32_f16 v91, v2, v10, v91
	;;#ASMEND
	;;#ASMSTART
	v_dot2_f32_f16 v91, v3, v11, v91
	;;#ASMEND
	;;#ASMSTART
	v_dot2_f32_f16 v91, v4, v12, v91
	;;#ASMEND
	;; [unrolled: 13-line block ×5, first 2 shown]
	;;#ASMSTART
	v_dot2_f32_f16 v95, v108, v9, v95
	;;#ASMEND
	;;#ASMSTART
	v_dot2_f32_f16 v95, v109, v10, v95
	;;#ASMEND
	;; [unrolled: 3-line block ×12, first 2 shown]
	s_waitcnt lgkmcnt(1)
	;;#ASMSTART
	v_dot2_f32_f16 v101, v112, v5, v101
	;;#ASMEND
	;;#ASMSTART
	v_dot2_f32_f16 v101, v113, v6, v101
	;;#ASMEND
	;; [unrolled: 3-line block ×16, first 2 shown]
	s_waitcnt lgkmcnt(0)
	;;#ASMSTART
	v_dot2_f32_f16 v103, v116, v5, v103
	;;#ASMEND
	;;#ASMSTART
	v_dot2_f32_f16 v103, v117, v6, v103
	;;#ASMEND
	;; [unrolled: 3-line block ×16, first 2 shown]
	ds_read_b128 v[1:4], v39 offset:64
	ds_read_b128 v[5:8], v86 offset:64
	;; [unrolled: 1-line block ×8, first 2 shown]
	s_waitcnt lgkmcnt(6)
	;;#ASMSTART
	v_dot2_f32_f16 v94, v1, v5, v94
	;;#ASMEND
	;;#ASMSTART
	v_dot2_f32_f16 v94, v2, v6, v94
	;;#ASMEND
	;;#ASMSTART
	v_dot2_f32_f16 v94, v3, v7, v94
	;;#ASMEND
	;;#ASMSTART
	v_dot2_f32_f16 v94, v4, v8, v94
	;;#ASMEND
	s_waitcnt lgkmcnt(5)
	;;#ASMSTART
	v_dot2_f32_f16 v91, v1, v9, v91
	;;#ASMEND
	;;#ASMSTART
	v_dot2_f32_f16 v91, v2, v10, v91
	;;#ASMEND
	;;#ASMSTART
	v_dot2_f32_f16 v91, v3, v11, v91
	;;#ASMEND
	;;#ASMSTART
	v_dot2_f32_f16 v91, v4, v12, v91
	;;#ASMEND
	;; [unrolled: 13-line block ×5, first 2 shown]
	;;#ASMSTART
	v_dot2_f32_f16 v95, v108, v9, v95
	;;#ASMEND
	;;#ASMSTART
	v_dot2_f32_f16 v95, v109, v10, v95
	;;#ASMEND
	;; [unrolled: 3-line block ×12, first 2 shown]
	s_waitcnt lgkmcnt(1)
	;;#ASMSTART
	v_dot2_f32_f16 v101, v112, v5, v101
	;;#ASMEND
	;;#ASMSTART
	v_dot2_f32_f16 v101, v113, v6, v101
	;;#ASMEND
	;; [unrolled: 3-line block ×16, first 2 shown]
	s_waitcnt lgkmcnt(0)
	;;#ASMSTART
	v_dot2_f32_f16 v103, v116, v5, v103
	;;#ASMEND
	;;#ASMSTART
	v_dot2_f32_f16 v103, v117, v6, v103
	;;#ASMEND
	;; [unrolled: 3-line block ×16, first 2 shown]
	ds_read_b128 v[13:16], v39 offset:80
	ds_read_b128 v[1:4], v86 offset:80
	;; [unrolled: 1-line block ×8, first 2 shown]
	s_waitcnt lgkmcnt(6)
	;;#ASMSTART
	v_dot2_f32_f16 v94, v13, v1, v94
	;;#ASMEND
	;;#ASMSTART
	v_dot2_f32_f16 v94, v14, v2, v94
	;;#ASMEND
	;;#ASMSTART
	v_dot2_f32_f16 v94, v15, v3, v94
	;;#ASMEND
	;;#ASMSTART
	v_dot2_f32_f16 v94, v16, v4, v94
	;;#ASMEND
	s_waitcnt lgkmcnt(5)
	;;#ASMSTART
	v_dot2_f32_f16 v91, v13, v5, v91
	;;#ASMEND
	;;#ASMSTART
	v_dot2_f32_f16 v91, v14, v6, v91
	;;#ASMEND
	;;#ASMSTART
	v_dot2_f32_f16 v91, v15, v7, v91
	;;#ASMEND
	;;#ASMSTART
	v_dot2_f32_f16 v91, v16, v8, v91
	;;#ASMEND
	;; [unrolled: 13-line block ×5, first 2 shown]
	;;#ASMSTART
	v_dot2_f32_f16 v95, v108, v5, v95
	;;#ASMEND
	;;#ASMSTART
	v_dot2_f32_f16 v95, v109, v6, v95
	;;#ASMEND
	;; [unrolled: 3-line block ×12, first 2 shown]
	s_waitcnt lgkmcnt(1)
	;;#ASMSTART
	v_dot2_f32_f16 v101, v112, v1, v101
	;;#ASMEND
	;;#ASMSTART
	v_dot2_f32_f16 v101, v113, v2, v101
	;;#ASMEND
	;; [unrolled: 3-line block ×16, first 2 shown]
	s_waitcnt lgkmcnt(0)
	;;#ASMSTART
	v_dot2_f32_f16 v103, v116, v1, v103
	;;#ASMEND
	;;#ASMSTART
	v_dot2_f32_f16 v103, v117, v2, v103
	;;#ASMEND
	;; [unrolled: 3-line block ×16, first 2 shown]
	ds_read_b128 v[1:4], v39 offset:96
	ds_read_b128 v[5:8], v86 offset:96
	;; [unrolled: 1-line block ×8, first 2 shown]
	s_waitcnt lgkmcnt(6)
	;;#ASMSTART
	v_dot2_f32_f16 v94, v1, v5, v94
	;;#ASMEND
	;;#ASMSTART
	v_dot2_f32_f16 v94, v2, v6, v94
	;;#ASMEND
	;;#ASMSTART
	v_dot2_f32_f16 v94, v3, v7, v94
	;;#ASMEND
	;;#ASMSTART
	v_dot2_f32_f16 v94, v4, v8, v94
	;;#ASMEND
	s_waitcnt lgkmcnt(5)
	;;#ASMSTART
	v_dot2_f32_f16 v91, v1, v9, v91
	;;#ASMEND
	;;#ASMSTART
	v_dot2_f32_f16 v91, v2, v10, v91
	;;#ASMEND
	;;#ASMSTART
	v_dot2_f32_f16 v91, v3, v11, v91
	;;#ASMEND
	;;#ASMSTART
	v_dot2_f32_f16 v91, v4, v12, v91
	;;#ASMEND
	s_waitcnt lgkmcnt(4)
	;;#ASMSTART
	v_dot2_f32_f16 v80, v1, v13, v80
	;;#ASMEND
	;;#ASMSTART
	v_dot2_f32_f16 v80, v2, v14, v80
	;;#ASMEND
	;;#ASMSTART
	v_dot2_f32_f16 v80, v3, v15, v80
	;;#ASMEND
	;;#ASMSTART
	v_dot2_f32_f16 v80, v4, v16, v80
	;;#ASMEND
	s_waitcnt lgkmcnt(3)
	;;#ASMSTART
	v_dot2_f32_f16 v72, v1, v104, v72
	;;#ASMEND
	;;#ASMSTART
	v_dot2_f32_f16 v72, v2, v105, v72
	;;#ASMEND
	;;#ASMSTART
	v_dot2_f32_f16 v72, v3, v106, v72
	;;#ASMEND
	;;#ASMSTART
	v_dot2_f32_f16 v72, v4, v107, v72
	;;#ASMEND
	s_waitcnt lgkmcnt(2)
	;;#ASMSTART
	v_dot2_f32_f16 v98, v108, v5, v98
	;;#ASMEND
	;;#ASMSTART
	v_dot2_f32_f16 v98, v109, v6, v98
	;;#ASMEND
	;;#ASMSTART
	v_dot2_f32_f16 v98, v110, v7, v98
	;;#ASMEND
	;;#ASMSTART
	v_dot2_f32_f16 v98, v111, v8, v98
	;;#ASMEND
	;;#ASMSTART
	v_dot2_f32_f16 v95, v108, v9, v95
	;;#ASMEND
	;;#ASMSTART
	v_dot2_f32_f16 v95, v109, v10, v95
	;;#ASMEND
	;;#ASMSTART
	v_dot2_f32_f16 v95, v110, v11, v95
	;;#ASMEND
	;;#ASMSTART
	v_dot2_f32_f16 v95, v111, v12, v95
	;;#ASMEND
	;;#ASMSTART
	v_dot2_f32_f16 v92, v108, v13, v92
	;;#ASMEND
	;;#ASMSTART
	v_dot2_f32_f16 v92, v109, v14, v92
	;;#ASMEND
	;;#ASMSTART
	v_dot2_f32_f16 v92, v110, v15, v92
	;;#ASMEND
	;;#ASMSTART
	v_dot2_f32_f16 v92, v111, v16, v92
	;;#ASMEND
	;;#ASMSTART
	v_dot2_f32_f16 v81, v108, v104, v81
	;;#ASMEND
	;;#ASMSTART
	v_dot2_f32_f16 v81, v109, v105, v81
	;;#ASMEND
	;;#ASMSTART
	v_dot2_f32_f16 v81, v110, v106, v81
	;;#ASMEND
	;;#ASMSTART
	v_dot2_f32_f16 v81, v111, v107, v81
	;;#ASMEND
	s_waitcnt lgkmcnt(1)
	;;#ASMSTART
	v_dot2_f32_f16 v101, v112, v5, v101
	;;#ASMEND
	;;#ASMSTART
	v_dot2_f32_f16 v101, v113, v6, v101
	;;#ASMEND
	;; [unrolled: 3-line block ×16, first 2 shown]
	s_waitcnt lgkmcnt(0)
	;;#ASMSTART
	v_dot2_f32_f16 v103, v116, v5, v103
	;;#ASMEND
	;;#ASMSTART
	v_dot2_f32_f16 v103, v117, v6, v103
	;;#ASMEND
	;; [unrolled: 3-line block ×16, first 2 shown]
	ds_read_b128 v[1:4], v39 offset:112
	ds_read_b128 v[5:8], v86 offset:112
	;; [unrolled: 1-line block ×8, first 2 shown]
	s_waitcnt lgkmcnt(6)
	;;#ASMSTART
	v_dot2_f32_f16 v94, v1, v5, v94
	;;#ASMEND
	;;#ASMSTART
	v_dot2_f32_f16 v94, v2, v6, v94
	;;#ASMEND
	;;#ASMSTART
	v_dot2_f32_f16 v94, v3, v7, v94
	;;#ASMEND
	;;#ASMSTART
	v_dot2_f32_f16 v94, v4, v8, v94
	;;#ASMEND
	s_waitcnt lgkmcnt(5)
	;;#ASMSTART
	v_dot2_f32_f16 v91, v1, v9, v91
	;;#ASMEND
	;;#ASMSTART
	v_dot2_f32_f16 v91, v2, v10, v91
	;;#ASMEND
	;;#ASMSTART
	v_dot2_f32_f16 v91, v3, v11, v91
	;;#ASMEND
	;;#ASMSTART
	v_dot2_f32_f16 v91, v4, v12, v91
	;;#ASMEND
	;; [unrolled: 13-line block ×5, first 2 shown]
	;;#ASMSTART
	v_dot2_f32_f16 v95, v108, v9, v95
	;;#ASMEND
	;;#ASMSTART
	v_dot2_f32_f16 v95, v109, v10, v95
	;;#ASMEND
	;; [unrolled: 3-line block ×11, first 2 shown]
	s_lshr_b32 s0, s24, 1
	;;#ASMSTART
	v_dot2_f32_f16 v81, v111, v107, v81
	;;#ASMEND
	s_waitcnt lgkmcnt(1)
	;;#ASMSTART
	v_dot2_f32_f16 v101, v112, v5, v101
	;;#ASMEND
	;;#ASMSTART
	v_dot2_f32_f16 v101, v113, v6, v101
	;;#ASMEND
	s_lshl_b64 s[26:27], s[0:1], 2
	;;#ASMSTART
	v_dot2_f32_f16 v101, v114, v7, v101
	;;#ASMEND
	;;#ASMSTART
	v_dot2_f32_f16 v101, v115, v8, v101
	;;#ASMEND
	;; [unrolled: 3-line block ×3, first 2 shown]
	s_add_u32 s0, s15, s26
	;;#ASMSTART
	v_dot2_f32_f16 v99, v113, v10, v99
	;;#ASMEND
	;;#ASMSTART
	v_dot2_f32_f16 v99, v114, v11, v99
	;;#ASMEND
	s_addc_u32 s25, s18, s27
	v_add_co_u32 v120, vcc_lo, s0, v19
	;;#ASMSTART
	v_dot2_f32_f16 v99, v115, v12, v99
	;;#ASMEND
	;;#ASMSTART
	v_dot2_f32_f16 v96, v112, v13, v96
	;;#ASMEND
	;; [unrolled: 3-line block ×3, first 2 shown]
	v_add_co_ci_u32_e64 v121, null, s25, v20, vcc_lo
	v_add_co_u32 v122, vcc_lo, s0, v21
	;;#ASMSTART
	v_dot2_f32_f16 v96, v114, v15, v96
	;;#ASMEND
	;;#ASMSTART
	v_dot2_f32_f16 v96, v115, v16, v96
	;;#ASMEND
	;;#ASMSTART
	v_dot2_f32_f16 v93, v112, v104, v93
	;;#ASMEND
	v_add_co_ci_u32_e64 v123, null, s25, v22, vcc_lo
	v_add_co_u32 v124, vcc_lo, s0, v23
	;;#ASMSTART
	v_dot2_f32_f16 v93, v113, v105, v93
	;;#ASMEND
	;;#ASMSTART
	v_dot2_f32_f16 v93, v114, v106, v93
	;;#ASMEND
	v_add_co_ci_u32_e64 v125, null, s25, v24, vcc_lo
	v_add_co_u32 v126, vcc_lo, s0, v25
	;;#ASMSTART
	v_dot2_f32_f16 v93, v115, v107, v93
	;;#ASMEND
	s_waitcnt lgkmcnt(0)
	;;#ASMSTART
	v_dot2_f32_f16 v103, v116, v5, v103
	;;#ASMEND
	;;#ASMSTART
	v_dot2_f32_f16 v103, v117, v6, v103
	;;#ASMEND
	v_add_co_ci_u32_e64 v127, null, s25, v26, vcc_lo
	v_add_co_u32 v120, vcc_lo, v120, v45
	;;#ASMSTART
	v_dot2_f32_f16 v103, v118, v7, v103
	;;#ASMEND
	;;#ASMSTART
	v_dot2_f32_f16 v103, v119, v8, v103
	;;#ASMEND
	;; [unrolled: 3-line block ×3, first 2 shown]
	v_add_co_ci_u32_e64 v121, null, 0, v121, vcc_lo
	v_add_co_u32 v122, vcc_lo, v122, v45
	;;#ASMSTART
	v_dot2_f32_f16 v102, v117, v10, v102
	;;#ASMEND
	;;#ASMSTART
	v_dot2_f32_f16 v102, v118, v11, v102
	;;#ASMEND
	v_add_co_ci_u32_e64 v123, null, 0, v123, vcc_lo
	v_add_co_u32 v124, vcc_lo, v124, v45
	;;#ASMSTART
	v_dot2_f32_f16 v102, v119, v12, v102
	;;#ASMEND
	;;#ASMSTART
	v_dot2_f32_f16 v100, v116, v13, v100
	;;#ASMEND
	;; [unrolled: 3-line block ×3, first 2 shown]
	v_add_co_ci_u32_e64 v125, null, 0, v125, vcc_lo
	v_add_co_u32 v126, vcc_lo, v126, v45
	;;#ASMSTART
	v_dot2_f32_f16 v100, v118, v15, v100
	;;#ASMEND
	;;#ASMSTART
	v_dot2_f32_f16 v100, v119, v16, v100
	;;#ASMEND
	;; [unrolled: 3-line block ×3, first 2 shown]
	v_add_co_ci_u32_e64 v127, null, 0, v127, vcc_lo
	;;#ASMSTART
	v_dot2_f32_f16 v97, v117, v105, v97
	;;#ASMEND
	;;#ASMSTART
	v_dot2_f32_f16 v97, v118, v106, v97
	;;#ASMEND
	;; [unrolled: 3-line block ×3, first 2 shown]
	s_barrier
	buffer_gl0_inv
	s_clause 0x3
	global_load_dwordx4 v[1:4], v[120:121], off
	global_load_dwordx4 v[5:8], v[122:123], off
	;; [unrolled: 1-line block ×4, first 2 shown]
	v_lshl_add_u32 v86, s24, 1, v33
	s_add_i32 s24, s19, 0x80
	s_waitcnt vmcnt(3)
	ds_write_b128 v35, v[1:4]
	s_waitcnt vmcnt(2)
	ds_write_b128 v36, v[5:8]
	;; [unrolled: 2-line block ×4, first 2 shown]
	s_waitcnt lgkmcnt(0)
	s_barrier
	buffer_gl0_inv
	ds_read_b128 v[1:4], v39
	ds_read_b128 v[5:8], v86
	ds_read_b128 v[9:12], v86 offset:1152
	ds_read_b128 v[13:16], v86 offset:2304
	;; [unrolled: 1-line block ×6, first 2 shown]
	s_waitcnt lgkmcnt(6)
	;;#ASMSTART
	v_dot2_f32_f16 v94, v1, v5, v94
	;;#ASMEND
	;;#ASMSTART
	v_dot2_f32_f16 v94, v2, v6, v94
	;;#ASMEND
	;;#ASMSTART
	v_dot2_f32_f16 v94, v3, v7, v94
	;;#ASMEND
	;;#ASMSTART
	v_dot2_f32_f16 v94, v4, v8, v94
	;;#ASMEND
	s_waitcnt lgkmcnt(5)
	;;#ASMSTART
	v_dot2_f32_f16 v91, v1, v9, v91
	;;#ASMEND
	;;#ASMSTART
	v_dot2_f32_f16 v91, v2, v10, v91
	;;#ASMEND
	;;#ASMSTART
	v_dot2_f32_f16 v91, v3, v11, v91
	;;#ASMEND
	;;#ASMSTART
	v_dot2_f32_f16 v91, v4, v12, v91
	;;#ASMEND
	;; [unrolled: 13-line block ×5, first 2 shown]
	;;#ASMSTART
	v_dot2_f32_f16 v95, v108, v9, v95
	;;#ASMEND
	;;#ASMSTART
	v_dot2_f32_f16 v95, v109, v10, v95
	;;#ASMEND
	;; [unrolled: 3-line block ×12, first 2 shown]
	s_waitcnt lgkmcnt(1)
	;;#ASMSTART
	v_dot2_f32_f16 v101, v112, v5, v101
	;;#ASMEND
	;;#ASMSTART
	v_dot2_f32_f16 v101, v113, v6, v101
	;;#ASMEND
	;; [unrolled: 3-line block ×16, first 2 shown]
	s_waitcnt lgkmcnt(0)
	;;#ASMSTART
	v_dot2_f32_f16 v103, v116, v5, v103
	;;#ASMEND
	;;#ASMSTART
	v_dot2_f32_f16 v103, v117, v6, v103
	;;#ASMEND
	;;#ASMSTART
	v_dot2_f32_f16 v103, v118, v7, v103
	;;#ASMEND
	;;#ASMSTART
	v_dot2_f32_f16 v103, v119, v8, v103
	;;#ASMEND
	;;#ASMSTART
	v_dot2_f32_f16 v102, v116, v9, v102
	;;#ASMEND
	;;#ASMSTART
	v_dot2_f32_f16 v102, v117, v10, v102
	;;#ASMEND
	;;#ASMSTART
	v_dot2_f32_f16 v102, v118, v11, v102
	;;#ASMEND
	;;#ASMSTART
	v_dot2_f32_f16 v102, v119, v12, v102
	;;#ASMEND
	;;#ASMSTART
	v_dot2_f32_f16 v100, v116, v13, v100
	;;#ASMEND
	;;#ASMSTART
	v_dot2_f32_f16 v100, v117, v14, v100
	;;#ASMEND
	;;#ASMSTART
	v_dot2_f32_f16 v100, v118, v15, v100
	;;#ASMEND
	;;#ASMSTART
	v_dot2_f32_f16 v100, v119, v16, v100
	;;#ASMEND
	;;#ASMSTART
	v_dot2_f32_f16 v97, v116, v104, v97
	;;#ASMEND
	;;#ASMSTART
	v_dot2_f32_f16 v97, v117, v105, v97
	;;#ASMEND
	;;#ASMSTART
	v_dot2_f32_f16 v97, v118, v106, v97
	;;#ASMEND
	;;#ASMSTART
	v_dot2_f32_f16 v97, v119, v107, v97
	;;#ASMEND
	ds_read_b128 v[1:4], v39 offset:16
	ds_read_b128 v[5:8], v86 offset:16
	;; [unrolled: 1-line block ×8, first 2 shown]
	s_waitcnt lgkmcnt(6)
	;;#ASMSTART
	v_dot2_f32_f16 v94, v1, v5, v94
	;;#ASMEND
	;;#ASMSTART
	v_dot2_f32_f16 v94, v2, v6, v94
	;;#ASMEND
	;;#ASMSTART
	v_dot2_f32_f16 v94, v3, v7, v94
	;;#ASMEND
	;;#ASMSTART
	v_dot2_f32_f16 v94, v4, v8, v94
	;;#ASMEND
	s_waitcnt lgkmcnt(5)
	;;#ASMSTART
	v_dot2_f32_f16 v91, v1, v9, v91
	;;#ASMEND
	;;#ASMSTART
	v_dot2_f32_f16 v91, v2, v10, v91
	;;#ASMEND
	;;#ASMSTART
	v_dot2_f32_f16 v91, v3, v11, v91
	;;#ASMEND
	;;#ASMSTART
	v_dot2_f32_f16 v91, v4, v12, v91
	;;#ASMEND
	;; [unrolled: 13-line block ×5, first 2 shown]
	;;#ASMSTART
	v_dot2_f32_f16 v95, v108, v9, v95
	;;#ASMEND
	;;#ASMSTART
	v_dot2_f32_f16 v95, v109, v10, v95
	;;#ASMEND
	;; [unrolled: 3-line block ×12, first 2 shown]
	s_waitcnt lgkmcnt(1)
	;;#ASMSTART
	v_dot2_f32_f16 v101, v112, v5, v101
	;;#ASMEND
	;;#ASMSTART
	v_dot2_f32_f16 v101, v113, v6, v101
	;;#ASMEND
	;;#ASMSTART
	v_dot2_f32_f16 v101, v114, v7, v101
	;;#ASMEND
	;;#ASMSTART
	v_dot2_f32_f16 v101, v115, v8, v101
	;;#ASMEND
	;;#ASMSTART
	v_dot2_f32_f16 v99, v112, v9, v99
	;;#ASMEND
	;;#ASMSTART
	v_dot2_f32_f16 v99, v113, v10, v99
	;;#ASMEND
	;;#ASMSTART
	v_dot2_f32_f16 v99, v114, v11, v99
	;;#ASMEND
	;;#ASMSTART
	v_dot2_f32_f16 v99, v115, v12, v99
	;;#ASMEND
	;;#ASMSTART
	v_dot2_f32_f16 v96, v112, v13, v96
	;;#ASMEND
	;;#ASMSTART
	v_dot2_f32_f16 v96, v113, v14, v96
	;;#ASMEND
	;;#ASMSTART
	v_dot2_f32_f16 v96, v114, v15, v96
	;;#ASMEND
	;;#ASMSTART
	v_dot2_f32_f16 v96, v115, v16, v96
	;;#ASMEND
	;;#ASMSTART
	v_dot2_f32_f16 v93, v112, v104, v93
	;;#ASMEND
	;;#ASMSTART
	v_dot2_f32_f16 v93, v113, v105, v93
	;;#ASMEND
	;;#ASMSTART
	v_dot2_f32_f16 v93, v114, v106, v93
	;;#ASMEND
	;;#ASMSTART
	v_dot2_f32_f16 v93, v115, v107, v93
	;;#ASMEND
	s_waitcnt lgkmcnt(0)
	;;#ASMSTART
	v_dot2_f32_f16 v103, v116, v5, v103
	;;#ASMEND
	;;#ASMSTART
	v_dot2_f32_f16 v103, v117, v6, v103
	;;#ASMEND
	;; [unrolled: 3-line block ×16, first 2 shown]
	ds_read_b128 v[1:4], v39 offset:32
	ds_read_b128 v[5:8], v86 offset:32
	;; [unrolled: 1-line block ×8, first 2 shown]
	s_waitcnt lgkmcnt(6)
	;;#ASMSTART
	v_dot2_f32_f16 v94, v1, v5, v94
	;;#ASMEND
	;;#ASMSTART
	v_dot2_f32_f16 v94, v2, v6, v94
	;;#ASMEND
	;;#ASMSTART
	v_dot2_f32_f16 v94, v3, v7, v94
	;;#ASMEND
	;;#ASMSTART
	v_dot2_f32_f16 v94, v4, v8, v94
	;;#ASMEND
	s_waitcnt lgkmcnt(5)
	;;#ASMSTART
	v_dot2_f32_f16 v91, v1, v9, v91
	;;#ASMEND
	;;#ASMSTART
	v_dot2_f32_f16 v91, v2, v10, v91
	;;#ASMEND
	;;#ASMSTART
	v_dot2_f32_f16 v91, v3, v11, v91
	;;#ASMEND
	;;#ASMSTART
	v_dot2_f32_f16 v91, v4, v12, v91
	;;#ASMEND
	;; [unrolled: 13-line block ×5, first 2 shown]
	;;#ASMSTART
	v_dot2_f32_f16 v95, v108, v9, v95
	;;#ASMEND
	;;#ASMSTART
	v_dot2_f32_f16 v95, v109, v10, v95
	;;#ASMEND
	;; [unrolled: 3-line block ×12, first 2 shown]
	s_waitcnt lgkmcnt(1)
	;;#ASMSTART
	v_dot2_f32_f16 v101, v112, v5, v101
	;;#ASMEND
	;;#ASMSTART
	v_dot2_f32_f16 v101, v113, v6, v101
	;;#ASMEND
	;; [unrolled: 3-line block ×16, first 2 shown]
	s_waitcnt lgkmcnt(0)
	;;#ASMSTART
	v_dot2_f32_f16 v103, v116, v5, v103
	;;#ASMEND
	;;#ASMSTART
	v_dot2_f32_f16 v103, v117, v6, v103
	;;#ASMEND
	;; [unrolled: 3-line block ×16, first 2 shown]
	ds_read_b128 v[1:4], v39 offset:48
	ds_read_b128 v[5:8], v86 offset:48
	;; [unrolled: 1-line block ×8, first 2 shown]
	s_waitcnt lgkmcnt(6)
	;;#ASMSTART
	v_dot2_f32_f16 v94, v1, v5, v94
	;;#ASMEND
	;;#ASMSTART
	v_dot2_f32_f16 v94, v2, v6, v94
	;;#ASMEND
	;;#ASMSTART
	v_dot2_f32_f16 v94, v3, v7, v94
	;;#ASMEND
	;;#ASMSTART
	v_dot2_f32_f16 v94, v4, v8, v94
	;;#ASMEND
	s_waitcnt lgkmcnt(5)
	;;#ASMSTART
	v_dot2_f32_f16 v91, v1, v9, v91
	;;#ASMEND
	;;#ASMSTART
	v_dot2_f32_f16 v91, v2, v10, v91
	;;#ASMEND
	;;#ASMSTART
	v_dot2_f32_f16 v91, v3, v11, v91
	;;#ASMEND
	;;#ASMSTART
	v_dot2_f32_f16 v91, v4, v12, v91
	;;#ASMEND
	;; [unrolled: 13-line block ×5, first 2 shown]
	;;#ASMSTART
	v_dot2_f32_f16 v95, v108, v9, v95
	;;#ASMEND
	;;#ASMSTART
	v_dot2_f32_f16 v95, v109, v10, v95
	;;#ASMEND
	;; [unrolled: 3-line block ×12, first 2 shown]
	s_waitcnt lgkmcnt(1)
	;;#ASMSTART
	v_dot2_f32_f16 v101, v112, v5, v101
	;;#ASMEND
	;;#ASMSTART
	v_dot2_f32_f16 v101, v113, v6, v101
	;;#ASMEND
	;; [unrolled: 3-line block ×16, first 2 shown]
	s_waitcnt lgkmcnt(0)
	;;#ASMSTART
	v_dot2_f32_f16 v103, v116, v5, v103
	;;#ASMEND
	;;#ASMSTART
	v_dot2_f32_f16 v103, v117, v6, v103
	;;#ASMEND
	;; [unrolled: 3-line block ×16, first 2 shown]
	ds_read_b128 v[1:4], v39 offset:64
	ds_read_b128 v[5:8], v86 offset:64
	;; [unrolled: 1-line block ×8, first 2 shown]
	s_waitcnt lgkmcnt(6)
	;;#ASMSTART
	v_dot2_f32_f16 v94, v1, v5, v94
	;;#ASMEND
	;;#ASMSTART
	v_dot2_f32_f16 v94, v2, v6, v94
	;;#ASMEND
	;;#ASMSTART
	v_dot2_f32_f16 v94, v3, v7, v94
	;;#ASMEND
	;;#ASMSTART
	v_dot2_f32_f16 v94, v4, v8, v94
	;;#ASMEND
	s_waitcnt lgkmcnt(5)
	;;#ASMSTART
	v_dot2_f32_f16 v91, v1, v9, v91
	;;#ASMEND
	;;#ASMSTART
	v_dot2_f32_f16 v91, v2, v10, v91
	;;#ASMEND
	;;#ASMSTART
	v_dot2_f32_f16 v91, v3, v11, v91
	;;#ASMEND
	;;#ASMSTART
	v_dot2_f32_f16 v91, v4, v12, v91
	;;#ASMEND
	;; [unrolled: 13-line block ×5, first 2 shown]
	;;#ASMSTART
	v_dot2_f32_f16 v95, v108, v9, v95
	;;#ASMEND
	;;#ASMSTART
	v_dot2_f32_f16 v95, v109, v10, v95
	;;#ASMEND
	;; [unrolled: 3-line block ×12, first 2 shown]
	s_waitcnt lgkmcnt(1)
	;;#ASMSTART
	v_dot2_f32_f16 v101, v112, v5, v101
	;;#ASMEND
	;;#ASMSTART
	v_dot2_f32_f16 v101, v113, v6, v101
	;;#ASMEND
	;; [unrolled: 3-line block ×16, first 2 shown]
	s_waitcnt lgkmcnt(0)
	;;#ASMSTART
	v_dot2_f32_f16 v103, v116, v5, v103
	;;#ASMEND
	;;#ASMSTART
	v_dot2_f32_f16 v103, v117, v6, v103
	;;#ASMEND
	;; [unrolled: 3-line block ×16, first 2 shown]
	ds_read_b128 v[13:16], v39 offset:80
	ds_read_b128 v[1:4], v86 offset:80
	;; [unrolled: 1-line block ×8, first 2 shown]
	s_waitcnt lgkmcnt(6)
	;;#ASMSTART
	v_dot2_f32_f16 v94, v13, v1, v94
	;;#ASMEND
	;;#ASMSTART
	v_dot2_f32_f16 v94, v14, v2, v94
	;;#ASMEND
	;;#ASMSTART
	v_dot2_f32_f16 v94, v15, v3, v94
	;;#ASMEND
	;;#ASMSTART
	v_dot2_f32_f16 v94, v16, v4, v94
	;;#ASMEND
	s_waitcnt lgkmcnt(5)
	;;#ASMSTART
	v_dot2_f32_f16 v91, v13, v5, v91
	;;#ASMEND
	;;#ASMSTART
	v_dot2_f32_f16 v91, v14, v6, v91
	;;#ASMEND
	;;#ASMSTART
	v_dot2_f32_f16 v91, v15, v7, v91
	;;#ASMEND
	;;#ASMSTART
	v_dot2_f32_f16 v91, v16, v8, v91
	;;#ASMEND
	;; [unrolled: 13-line block ×5, first 2 shown]
	;;#ASMSTART
	v_dot2_f32_f16 v95, v108, v5, v95
	;;#ASMEND
	;;#ASMSTART
	v_dot2_f32_f16 v95, v109, v6, v95
	;;#ASMEND
	;; [unrolled: 3-line block ×12, first 2 shown]
	s_waitcnt lgkmcnt(1)
	;;#ASMSTART
	v_dot2_f32_f16 v101, v112, v1, v101
	;;#ASMEND
	;;#ASMSTART
	v_dot2_f32_f16 v101, v113, v2, v101
	;;#ASMEND
	;; [unrolled: 3-line block ×16, first 2 shown]
	s_waitcnt lgkmcnt(0)
	;;#ASMSTART
	v_dot2_f32_f16 v103, v116, v1, v103
	;;#ASMEND
	;;#ASMSTART
	v_dot2_f32_f16 v103, v117, v2, v103
	;;#ASMEND
	;; [unrolled: 3-line block ×16, first 2 shown]
	ds_read_b128 v[1:4], v39 offset:96
	ds_read_b128 v[5:8], v86 offset:96
	;; [unrolled: 1-line block ×8, first 2 shown]
	s_waitcnt lgkmcnt(6)
	;;#ASMSTART
	v_dot2_f32_f16 v94, v1, v5, v94
	;;#ASMEND
	;;#ASMSTART
	v_dot2_f32_f16 v94, v2, v6, v94
	;;#ASMEND
	;;#ASMSTART
	v_dot2_f32_f16 v94, v3, v7, v94
	;;#ASMEND
	;;#ASMSTART
	v_dot2_f32_f16 v94, v4, v8, v94
	;;#ASMEND
	s_waitcnt lgkmcnt(5)
	;;#ASMSTART
	v_dot2_f32_f16 v91, v1, v9, v91
	;;#ASMEND
	;;#ASMSTART
	v_dot2_f32_f16 v91, v2, v10, v91
	;;#ASMEND
	;;#ASMSTART
	v_dot2_f32_f16 v91, v3, v11, v91
	;;#ASMEND
	;;#ASMSTART
	v_dot2_f32_f16 v91, v4, v12, v91
	;;#ASMEND
	;; [unrolled: 13-line block ×5, first 2 shown]
	;;#ASMSTART
	v_dot2_f32_f16 v95, v108, v9, v95
	;;#ASMEND
	;;#ASMSTART
	v_dot2_f32_f16 v95, v109, v10, v95
	;;#ASMEND
	;;#ASMSTART
	v_dot2_f32_f16 v95, v110, v11, v95
	;;#ASMEND
	;;#ASMSTART
	v_dot2_f32_f16 v95, v111, v12, v95
	;;#ASMEND
	;;#ASMSTART
	v_dot2_f32_f16 v92, v108, v13, v92
	;;#ASMEND
	;;#ASMSTART
	v_dot2_f32_f16 v92, v109, v14, v92
	;;#ASMEND
	;;#ASMSTART
	v_dot2_f32_f16 v92, v110, v15, v92
	;;#ASMEND
	;;#ASMSTART
	v_dot2_f32_f16 v92, v111, v16, v92
	;;#ASMEND
	;;#ASMSTART
	v_dot2_f32_f16 v81, v108, v104, v81
	;;#ASMEND
	;;#ASMSTART
	v_dot2_f32_f16 v81, v109, v105, v81
	;;#ASMEND
	;;#ASMSTART
	v_dot2_f32_f16 v81, v110, v106, v81
	;;#ASMEND
	;;#ASMSTART
	v_dot2_f32_f16 v81, v111, v107, v81
	;;#ASMEND
	s_waitcnt lgkmcnt(1)
	;;#ASMSTART
	v_dot2_f32_f16 v101, v112, v5, v101
	;;#ASMEND
	;;#ASMSTART
	v_dot2_f32_f16 v101, v113, v6, v101
	;;#ASMEND
	;; [unrolled: 3-line block ×16, first 2 shown]
	s_waitcnt lgkmcnt(0)
	;;#ASMSTART
	v_dot2_f32_f16 v103, v116, v5, v103
	;;#ASMEND
	;;#ASMSTART
	v_dot2_f32_f16 v103, v117, v6, v103
	;;#ASMEND
	;; [unrolled: 3-line block ×16, first 2 shown]
	ds_read_b128 v[1:4], v39 offset:112
	ds_read_b128 v[5:8], v86 offset:112
	;; [unrolled: 1-line block ×8, first 2 shown]
	s_waitcnt lgkmcnt(6)
	;;#ASMSTART
	v_dot2_f32_f16 v94, v1, v5, v94
	;;#ASMEND
	;;#ASMSTART
	v_dot2_f32_f16 v94, v2, v6, v94
	;;#ASMEND
	;;#ASMSTART
	v_dot2_f32_f16 v94, v3, v7, v94
	;;#ASMEND
	;;#ASMSTART
	v_dot2_f32_f16 v94, v4, v8, v94
	;;#ASMEND
	s_waitcnt lgkmcnt(5)
	;;#ASMSTART
	v_dot2_f32_f16 v91, v1, v9, v91
	;;#ASMEND
	;;#ASMSTART
	v_dot2_f32_f16 v91, v2, v10, v91
	;;#ASMEND
	;;#ASMSTART
	v_dot2_f32_f16 v91, v3, v11, v91
	;;#ASMEND
	;;#ASMSTART
	v_dot2_f32_f16 v91, v4, v12, v91
	;;#ASMEND
	s_waitcnt lgkmcnt(4)
	;;#ASMSTART
	v_dot2_f32_f16 v80, v1, v13, v80
	;;#ASMEND
	;;#ASMSTART
	v_dot2_f32_f16 v80, v2, v14, v80
	;;#ASMEND
	;;#ASMSTART
	v_dot2_f32_f16 v80, v3, v15, v80
	;;#ASMEND
	;;#ASMSTART
	v_dot2_f32_f16 v80, v4, v16, v80
	;;#ASMEND
	s_waitcnt lgkmcnt(3)
	;;#ASMSTART
	v_dot2_f32_f16 v72, v1, v104, v72
	;;#ASMEND
	;;#ASMSTART
	v_dot2_f32_f16 v72, v2, v105, v72
	;;#ASMEND
	;;#ASMSTART
	v_dot2_f32_f16 v72, v3, v106, v72
	;;#ASMEND
	;;#ASMSTART
	v_dot2_f32_f16 v72, v4, v107, v72
	;;#ASMEND
	s_waitcnt lgkmcnt(2)
	;;#ASMSTART
	v_dot2_f32_f16 v98, v108, v5, v98
	;;#ASMEND
	;;#ASMSTART
	v_dot2_f32_f16 v98, v109, v6, v98
	;;#ASMEND
	;;#ASMSTART
	v_dot2_f32_f16 v98, v110, v7, v98
	;;#ASMEND
	;;#ASMSTART
	v_dot2_f32_f16 v98, v111, v8, v98
	;;#ASMEND
	;;#ASMSTART
	v_dot2_f32_f16 v95, v108, v9, v95
	;;#ASMEND
	;;#ASMSTART
	v_dot2_f32_f16 v95, v109, v10, v95
	;;#ASMEND
	;; [unrolled: 3-line block ×11, first 2 shown]
	s_lshr_b32 s0, s24, 1
	;;#ASMSTART
	v_dot2_f32_f16 v81, v111, v107, v81
	;;#ASMEND
	s_waitcnt lgkmcnt(1)
	;;#ASMSTART
	v_dot2_f32_f16 v101, v112, v5, v101
	;;#ASMEND
	;;#ASMSTART
	v_dot2_f32_f16 v101, v113, v6, v101
	;;#ASMEND
	s_lshl_b64 s[26:27], s[0:1], 2
	;;#ASMSTART
	v_dot2_f32_f16 v101, v114, v7, v101
	;;#ASMEND
	;;#ASMSTART
	v_dot2_f32_f16 v101, v115, v8, v101
	;;#ASMEND
	;; [unrolled: 3-line block ×3, first 2 shown]
	s_add_u32 s0, s15, s26
	;;#ASMSTART
	v_dot2_f32_f16 v99, v113, v10, v99
	;;#ASMEND
	;;#ASMSTART
	v_dot2_f32_f16 v99, v114, v11, v99
	;;#ASMEND
	s_addc_u32 s25, s18, s27
	v_add_co_u32 v120, vcc_lo, s0, v19
	;;#ASMSTART
	v_dot2_f32_f16 v99, v115, v12, v99
	;;#ASMEND
	;;#ASMSTART
	v_dot2_f32_f16 v96, v112, v13, v96
	;;#ASMEND
	;; [unrolled: 3-line block ×3, first 2 shown]
	v_add_co_ci_u32_e64 v121, null, s25, v20, vcc_lo
	v_add_co_u32 v122, vcc_lo, s0, v21
	;;#ASMSTART
	v_dot2_f32_f16 v96, v114, v15, v96
	;;#ASMEND
	;;#ASMSTART
	v_dot2_f32_f16 v96, v115, v16, v96
	;;#ASMEND
	;; [unrolled: 3-line block ×3, first 2 shown]
	v_add_co_ci_u32_e64 v123, null, s25, v22, vcc_lo
	v_add_co_u32 v124, vcc_lo, s0, v23
	;;#ASMSTART
	v_dot2_f32_f16 v93, v113, v105, v93
	;;#ASMEND
	;;#ASMSTART
	v_dot2_f32_f16 v93, v114, v106, v93
	;;#ASMEND
	v_add_co_ci_u32_e64 v125, null, s25, v24, vcc_lo
	v_add_co_u32 v126, vcc_lo, s0, v25
	;;#ASMSTART
	v_dot2_f32_f16 v93, v115, v107, v93
	;;#ASMEND
	s_waitcnt lgkmcnt(0)
	;;#ASMSTART
	v_dot2_f32_f16 v103, v116, v5, v103
	;;#ASMEND
	;;#ASMSTART
	v_dot2_f32_f16 v103, v117, v6, v103
	;;#ASMEND
	v_add_co_ci_u32_e64 v127, null, s25, v26, vcc_lo
	v_add_co_u32 v120, vcc_lo, v120, v45
	;;#ASMSTART
	v_dot2_f32_f16 v103, v118, v7, v103
	;;#ASMEND
	;;#ASMSTART
	v_dot2_f32_f16 v103, v119, v8, v103
	;;#ASMEND
	;; [unrolled: 3-line block ×3, first 2 shown]
	v_add_co_ci_u32_e64 v121, null, 0, v121, vcc_lo
	v_add_co_u32 v122, vcc_lo, v122, v45
	;;#ASMSTART
	v_dot2_f32_f16 v102, v117, v10, v102
	;;#ASMEND
	;;#ASMSTART
	v_dot2_f32_f16 v102, v118, v11, v102
	;;#ASMEND
	v_add_co_ci_u32_e64 v123, null, 0, v123, vcc_lo
	v_add_co_u32 v124, vcc_lo, v124, v45
	;;#ASMSTART
	v_dot2_f32_f16 v102, v119, v12, v102
	;;#ASMEND
	;;#ASMSTART
	v_dot2_f32_f16 v100, v116, v13, v100
	;;#ASMEND
	;; [unrolled: 3-line block ×3, first 2 shown]
	v_add_co_ci_u32_e64 v125, null, 0, v125, vcc_lo
	v_add_co_u32 v126, vcc_lo, v126, v45
	;;#ASMSTART
	v_dot2_f32_f16 v100, v118, v15, v100
	;;#ASMEND
	;;#ASMSTART
	v_dot2_f32_f16 v100, v119, v16, v100
	;;#ASMEND
	;; [unrolled: 3-line block ×3, first 2 shown]
	v_add_co_ci_u32_e64 v127, null, 0, v127, vcc_lo
	;;#ASMSTART
	v_dot2_f32_f16 v97, v117, v105, v97
	;;#ASMEND
	;;#ASMSTART
	v_dot2_f32_f16 v97, v118, v106, v97
	;;#ASMEND
	;; [unrolled: 3-line block ×3, first 2 shown]
	s_barrier
	buffer_gl0_inv
	s_clause 0x3
	global_load_dwordx4 v[2:5], v[120:121], off
	global_load_dwordx4 v[6:9], v[122:123], off
	;; [unrolled: 1-line block ×4, first 2 shown]
	v_lshl_add_u32 v1, s24, 1, v33
	s_waitcnt vmcnt(3)
	ds_write_b128 v35, v[2:5]
	s_waitcnt vmcnt(2)
	ds_write_b128 v36, v[6:9]
	;; [unrolled: 2-line block ×4, first 2 shown]
	s_waitcnt lgkmcnt(0)
	s_barrier
	buffer_gl0_inv
	ds_read_b128 v[2:5], v39
	ds_read_b128 v[6:9], v1
	ds_read_b128 v[10:13], v1 offset:1152
	ds_read_b128 v[104:107], v1 offset:2304
	;; [unrolled: 1-line block ×6, first 2 shown]
	s_waitcnt lgkmcnt(6)
	;;#ASMSTART
	v_dot2_f32_f16 v94, v2, v6, v94
	;;#ASMEND
	;;#ASMSTART
	v_dot2_f32_f16 v94, v3, v7, v94
	;;#ASMEND
	;;#ASMSTART
	v_dot2_f32_f16 v94, v4, v8, v94
	;;#ASMEND
	;;#ASMSTART
	v_dot2_f32_f16 v94, v5, v9, v94
	;;#ASMEND
	s_waitcnt lgkmcnt(5)
	;;#ASMSTART
	v_dot2_f32_f16 v91, v2, v10, v91
	;;#ASMEND
	;;#ASMSTART
	v_dot2_f32_f16 v91, v3, v11, v91
	;;#ASMEND
	;;#ASMSTART
	v_dot2_f32_f16 v91, v4, v12, v91
	;;#ASMEND
	;;#ASMSTART
	v_dot2_f32_f16 v91, v5, v13, v91
	;;#ASMEND
	;; [unrolled: 13-line block ×5, first 2 shown]
	;;#ASMSTART
	v_dot2_f32_f16 v95, v112, v10, v95
	;;#ASMEND
	;;#ASMSTART
	v_dot2_f32_f16 v95, v113, v11, v95
	;;#ASMEND
	;;#ASMSTART
	v_dot2_f32_f16 v95, v114, v12, v95
	;;#ASMEND
	;;#ASMSTART
	v_dot2_f32_f16 v95, v115, v13, v95
	;;#ASMEND
	;;#ASMSTART
	v_dot2_f32_f16 v92, v112, v104, v92
	;;#ASMEND
	;;#ASMSTART
	v_dot2_f32_f16 v92, v113, v105, v92
	;;#ASMEND
	;;#ASMSTART
	v_dot2_f32_f16 v92, v114, v106, v92
	;;#ASMEND
	;;#ASMSTART
	v_dot2_f32_f16 v92, v115, v107, v92
	;;#ASMEND
	;;#ASMSTART
	v_dot2_f32_f16 v81, v112, v108, v81
	;;#ASMEND
	;;#ASMSTART
	v_dot2_f32_f16 v81, v113, v109, v81
	;;#ASMEND
	;;#ASMSTART
	v_dot2_f32_f16 v81, v114, v110, v81
	;;#ASMEND
	;;#ASMSTART
	v_dot2_f32_f16 v81, v115, v111, v81
	;;#ASMEND
	s_waitcnt lgkmcnt(1)
	;;#ASMSTART
	v_dot2_f32_f16 v101, v116, v6, v101
	;;#ASMEND
	;;#ASMSTART
	v_dot2_f32_f16 v101, v117, v7, v101
	;;#ASMEND
	;; [unrolled: 3-line block ×16, first 2 shown]
	s_waitcnt lgkmcnt(0)
	;;#ASMSTART
	v_dot2_f32_f16 v103, v120, v6, v103
	;;#ASMEND
	;;#ASMSTART
	v_dot2_f32_f16 v103, v121, v7, v103
	;;#ASMEND
	;; [unrolled: 3-line block ×16, first 2 shown]
	ds_read_b128 v[2:5], v39 offset:16
	ds_read_b128 v[6:9], v1 offset:16
	;; [unrolled: 1-line block ×8, first 2 shown]
	s_waitcnt lgkmcnt(6)
	;;#ASMSTART
	v_dot2_f32_f16 v94, v2, v6, v94
	;;#ASMEND
	;;#ASMSTART
	v_dot2_f32_f16 v94, v3, v7, v94
	;;#ASMEND
	;;#ASMSTART
	v_dot2_f32_f16 v94, v4, v8, v94
	;;#ASMEND
	;;#ASMSTART
	v_dot2_f32_f16 v94, v5, v9, v94
	;;#ASMEND
	s_waitcnt lgkmcnt(5)
	;;#ASMSTART
	v_dot2_f32_f16 v91, v2, v10, v91
	;;#ASMEND
	;;#ASMSTART
	v_dot2_f32_f16 v91, v3, v11, v91
	;;#ASMEND
	;;#ASMSTART
	v_dot2_f32_f16 v91, v4, v12, v91
	;;#ASMEND
	;;#ASMSTART
	v_dot2_f32_f16 v91, v5, v13, v91
	;;#ASMEND
	;; [unrolled: 13-line block ×5, first 2 shown]
	;;#ASMSTART
	v_dot2_f32_f16 v95, v112, v10, v95
	;;#ASMEND
	;;#ASMSTART
	v_dot2_f32_f16 v95, v113, v11, v95
	;;#ASMEND
	;; [unrolled: 3-line block ×12, first 2 shown]
	s_waitcnt lgkmcnt(1)
	;;#ASMSTART
	v_dot2_f32_f16 v101, v116, v6, v101
	;;#ASMEND
	;;#ASMSTART
	v_dot2_f32_f16 v101, v117, v7, v101
	;;#ASMEND
	;; [unrolled: 3-line block ×16, first 2 shown]
	s_waitcnt lgkmcnt(0)
	;;#ASMSTART
	v_dot2_f32_f16 v103, v120, v6, v103
	;;#ASMEND
	;;#ASMSTART
	v_dot2_f32_f16 v103, v121, v7, v103
	;;#ASMEND
	;; [unrolled: 3-line block ×16, first 2 shown]
	ds_read_b128 v[2:5], v39 offset:32
	ds_read_b128 v[6:9], v1 offset:32
	;; [unrolled: 1-line block ×8, first 2 shown]
	s_waitcnt lgkmcnt(6)
	;;#ASMSTART
	v_dot2_f32_f16 v94, v2, v6, v94
	;;#ASMEND
	;;#ASMSTART
	v_dot2_f32_f16 v94, v3, v7, v94
	;;#ASMEND
	;;#ASMSTART
	v_dot2_f32_f16 v94, v4, v8, v94
	;;#ASMEND
	;;#ASMSTART
	v_dot2_f32_f16 v94, v5, v9, v94
	;;#ASMEND
	s_waitcnt lgkmcnt(5)
	;;#ASMSTART
	v_dot2_f32_f16 v91, v2, v10, v91
	;;#ASMEND
	;;#ASMSTART
	v_dot2_f32_f16 v91, v3, v11, v91
	;;#ASMEND
	;;#ASMSTART
	v_dot2_f32_f16 v91, v4, v12, v91
	;;#ASMEND
	;;#ASMSTART
	v_dot2_f32_f16 v91, v5, v13, v91
	;;#ASMEND
	;; [unrolled: 13-line block ×5, first 2 shown]
	;;#ASMSTART
	v_dot2_f32_f16 v95, v112, v10, v95
	;;#ASMEND
	;;#ASMSTART
	v_dot2_f32_f16 v95, v113, v11, v95
	;;#ASMEND
	;; [unrolled: 3-line block ×12, first 2 shown]
	s_waitcnt lgkmcnt(1)
	;;#ASMSTART
	v_dot2_f32_f16 v101, v116, v6, v101
	;;#ASMEND
	;;#ASMSTART
	v_dot2_f32_f16 v101, v117, v7, v101
	;;#ASMEND
	;; [unrolled: 3-line block ×16, first 2 shown]
	s_waitcnt lgkmcnt(0)
	;;#ASMSTART
	v_dot2_f32_f16 v103, v120, v6, v103
	;;#ASMEND
	;;#ASMSTART
	v_dot2_f32_f16 v103, v121, v7, v103
	;;#ASMEND
	;; [unrolled: 3-line block ×16, first 2 shown]
	ds_read_b128 v[2:5], v39 offset:48
	ds_read_b128 v[6:9], v1 offset:48
	;; [unrolled: 1-line block ×8, first 2 shown]
	s_waitcnt lgkmcnt(6)
	;;#ASMSTART
	v_dot2_f32_f16 v94, v2, v6, v94
	;;#ASMEND
	;;#ASMSTART
	v_dot2_f32_f16 v94, v3, v7, v94
	;;#ASMEND
	;;#ASMSTART
	v_dot2_f32_f16 v94, v4, v8, v94
	;;#ASMEND
	;;#ASMSTART
	v_dot2_f32_f16 v94, v5, v9, v94
	;;#ASMEND
	s_waitcnt lgkmcnt(5)
	;;#ASMSTART
	v_dot2_f32_f16 v91, v2, v10, v91
	;;#ASMEND
	;;#ASMSTART
	v_dot2_f32_f16 v91, v3, v11, v91
	;;#ASMEND
	;;#ASMSTART
	v_dot2_f32_f16 v91, v4, v12, v91
	;;#ASMEND
	;;#ASMSTART
	v_dot2_f32_f16 v91, v5, v13, v91
	;;#ASMEND
	;; [unrolled: 13-line block ×5, first 2 shown]
	;;#ASMSTART
	v_dot2_f32_f16 v95, v112, v10, v95
	;;#ASMEND
	;;#ASMSTART
	v_dot2_f32_f16 v95, v113, v11, v95
	;;#ASMEND
	;; [unrolled: 3-line block ×12, first 2 shown]
	s_waitcnt lgkmcnt(1)
	;;#ASMSTART
	v_dot2_f32_f16 v101, v116, v6, v101
	;;#ASMEND
	;;#ASMSTART
	v_dot2_f32_f16 v101, v117, v7, v101
	;;#ASMEND
	;; [unrolled: 3-line block ×16, first 2 shown]
	s_waitcnt lgkmcnt(0)
	;;#ASMSTART
	v_dot2_f32_f16 v103, v120, v6, v103
	;;#ASMEND
	;;#ASMSTART
	v_dot2_f32_f16 v103, v121, v7, v103
	;;#ASMEND
	;; [unrolled: 3-line block ×16, first 2 shown]
	ds_read_b128 v[2:5], v39 offset:64
	ds_read_b128 v[6:9], v1 offset:64
	;; [unrolled: 1-line block ×8, first 2 shown]
	s_waitcnt lgkmcnt(6)
	;;#ASMSTART
	v_dot2_f32_f16 v94, v2, v6, v94
	;;#ASMEND
	;;#ASMSTART
	v_dot2_f32_f16 v94, v3, v7, v94
	;;#ASMEND
	;;#ASMSTART
	v_dot2_f32_f16 v94, v4, v8, v94
	;;#ASMEND
	;;#ASMSTART
	v_dot2_f32_f16 v94, v5, v9, v94
	;;#ASMEND
	s_waitcnt lgkmcnt(5)
	;;#ASMSTART
	v_dot2_f32_f16 v91, v2, v10, v91
	;;#ASMEND
	;;#ASMSTART
	v_dot2_f32_f16 v91, v3, v11, v91
	;;#ASMEND
	;;#ASMSTART
	v_dot2_f32_f16 v91, v4, v12, v91
	;;#ASMEND
	;;#ASMSTART
	v_dot2_f32_f16 v91, v5, v13, v91
	;;#ASMEND
	s_waitcnt lgkmcnt(4)
	;;#ASMSTART
	v_dot2_f32_f16 v80, v2, v104, v80
	;;#ASMEND
	;;#ASMSTART
	v_dot2_f32_f16 v80, v3, v105, v80
	;;#ASMEND
	;;#ASMSTART
	v_dot2_f32_f16 v80, v4, v106, v80
	;;#ASMEND
	;;#ASMSTART
	v_dot2_f32_f16 v80, v5, v107, v80
	;;#ASMEND
	s_waitcnt lgkmcnt(3)
	;;#ASMSTART
	v_dot2_f32_f16 v72, v2, v108, v72
	;;#ASMEND
	;;#ASMSTART
	v_dot2_f32_f16 v72, v3, v109, v72
	;;#ASMEND
	;;#ASMSTART
	v_dot2_f32_f16 v72, v4, v110, v72
	;;#ASMEND
	;;#ASMSTART
	v_dot2_f32_f16 v72, v5, v111, v72
	;;#ASMEND
	s_waitcnt lgkmcnt(2)
	;;#ASMSTART
	v_dot2_f32_f16 v98, v112, v6, v98
	;;#ASMEND
	;;#ASMSTART
	v_dot2_f32_f16 v98, v113, v7, v98
	;;#ASMEND
	;;#ASMSTART
	v_dot2_f32_f16 v98, v114, v8, v98
	;;#ASMEND
	;;#ASMSTART
	v_dot2_f32_f16 v98, v115, v9, v98
	;;#ASMEND
	;;#ASMSTART
	v_dot2_f32_f16 v95, v112, v10, v95
	;;#ASMEND
	;;#ASMSTART
	v_dot2_f32_f16 v95, v113, v11, v95
	;;#ASMEND
	;; [unrolled: 3-line block ×12, first 2 shown]
	s_waitcnt lgkmcnt(1)
	;;#ASMSTART
	v_dot2_f32_f16 v101, v116, v6, v101
	;;#ASMEND
	;;#ASMSTART
	v_dot2_f32_f16 v101, v117, v7, v101
	;;#ASMEND
	;; [unrolled: 3-line block ×16, first 2 shown]
	s_waitcnt lgkmcnt(0)
	;;#ASMSTART
	v_dot2_f32_f16 v103, v120, v6, v103
	;;#ASMEND
	;;#ASMSTART
	v_dot2_f32_f16 v103, v121, v7, v103
	;;#ASMEND
	;; [unrolled: 3-line block ×16, first 2 shown]
	ds_read_b128 v[2:5], v39 offset:80
	ds_read_b128 v[6:9], v1 offset:80
	;; [unrolled: 1-line block ×8, first 2 shown]
	s_waitcnt lgkmcnt(6)
	;;#ASMSTART
	v_dot2_f32_f16 v94, v2, v6, v94
	;;#ASMEND
	;;#ASMSTART
	v_dot2_f32_f16 v94, v3, v7, v94
	;;#ASMEND
	;;#ASMSTART
	v_dot2_f32_f16 v94, v4, v8, v94
	;;#ASMEND
	;;#ASMSTART
	v_dot2_f32_f16 v94, v5, v9, v94
	;;#ASMEND
	s_waitcnt lgkmcnt(5)
	;;#ASMSTART
	v_dot2_f32_f16 v91, v2, v10, v91
	;;#ASMEND
	;;#ASMSTART
	v_dot2_f32_f16 v91, v3, v11, v91
	;;#ASMEND
	;;#ASMSTART
	v_dot2_f32_f16 v91, v4, v12, v91
	;;#ASMEND
	;;#ASMSTART
	v_dot2_f32_f16 v91, v5, v13, v91
	;;#ASMEND
	;; [unrolled: 13-line block ×5, first 2 shown]
	;;#ASMSTART
	v_dot2_f32_f16 v95, v112, v10, v95
	;;#ASMEND
	;;#ASMSTART
	v_dot2_f32_f16 v95, v113, v11, v95
	;;#ASMEND
	;; [unrolled: 3-line block ×12, first 2 shown]
	s_waitcnt lgkmcnt(1)
	;;#ASMSTART
	v_dot2_f32_f16 v101, v116, v6, v101
	;;#ASMEND
	;;#ASMSTART
	v_dot2_f32_f16 v101, v117, v7, v101
	;;#ASMEND
	;; [unrolled: 3-line block ×16, first 2 shown]
	s_waitcnt lgkmcnt(0)
	;;#ASMSTART
	v_dot2_f32_f16 v103, v120, v6, v103
	;;#ASMEND
	;;#ASMSTART
	v_dot2_f32_f16 v103, v121, v7, v103
	;;#ASMEND
	;; [unrolled: 3-line block ×16, first 2 shown]
	ds_read_b128 v[2:5], v39 offset:96
	ds_read_b128 v[6:9], v1 offset:96
	;; [unrolled: 1-line block ×8, first 2 shown]
	s_waitcnt lgkmcnt(6)
	;;#ASMSTART
	v_dot2_f32_f16 v94, v2, v6, v94
	;;#ASMEND
	;;#ASMSTART
	v_dot2_f32_f16 v94, v3, v7, v94
	;;#ASMEND
	;;#ASMSTART
	v_dot2_f32_f16 v94, v4, v8, v94
	;;#ASMEND
	;;#ASMSTART
	v_dot2_f32_f16 v94, v5, v9, v94
	;;#ASMEND
	s_waitcnt lgkmcnt(5)
	;;#ASMSTART
	v_dot2_f32_f16 v91, v2, v10, v91
	;;#ASMEND
	;;#ASMSTART
	v_dot2_f32_f16 v91, v3, v11, v91
	;;#ASMEND
	;;#ASMSTART
	v_dot2_f32_f16 v91, v4, v12, v91
	;;#ASMEND
	;;#ASMSTART
	v_dot2_f32_f16 v91, v5, v13, v91
	;;#ASMEND
	s_waitcnt lgkmcnt(4)
	;;#ASMSTART
	v_dot2_f32_f16 v80, v2, v104, v80
	;;#ASMEND
	;;#ASMSTART
	v_dot2_f32_f16 v80, v3, v105, v80
	;;#ASMEND
	;;#ASMSTART
	v_dot2_f32_f16 v80, v4, v106, v80
	;;#ASMEND
	;;#ASMSTART
	v_dot2_f32_f16 v80, v5, v107, v80
	;;#ASMEND
	s_waitcnt lgkmcnt(3)
	;;#ASMSTART
	v_dot2_f32_f16 v72, v2, v108, v72
	;;#ASMEND
	;;#ASMSTART
	v_dot2_f32_f16 v72, v3, v109, v72
	;;#ASMEND
	;;#ASMSTART
	v_dot2_f32_f16 v72, v4, v110, v72
	;;#ASMEND
	;;#ASMSTART
	v_dot2_f32_f16 v72, v5, v111, v72
	;;#ASMEND
	s_waitcnt lgkmcnt(2)
	;;#ASMSTART
	v_dot2_f32_f16 v98, v112, v6, v98
	;;#ASMEND
	;;#ASMSTART
	v_dot2_f32_f16 v98, v113, v7, v98
	;;#ASMEND
	;;#ASMSTART
	v_dot2_f32_f16 v98, v114, v8, v98
	;;#ASMEND
	;;#ASMSTART
	v_dot2_f32_f16 v98, v115, v9, v98
	;;#ASMEND
	;;#ASMSTART
	v_dot2_f32_f16 v95, v112, v10, v95
	;;#ASMEND
	;;#ASMSTART
	v_dot2_f32_f16 v95, v113, v11, v95
	;;#ASMEND
	;; [unrolled: 3-line block ×12, first 2 shown]
	s_waitcnt lgkmcnt(1)
	;;#ASMSTART
	v_dot2_f32_f16 v101, v116, v6, v101
	;;#ASMEND
	;;#ASMSTART
	v_dot2_f32_f16 v101, v117, v7, v101
	;;#ASMEND
	;; [unrolled: 3-line block ×16, first 2 shown]
	s_waitcnt lgkmcnt(0)
	;;#ASMSTART
	v_dot2_f32_f16 v103, v120, v6, v103
	;;#ASMEND
	;;#ASMSTART
	v_dot2_f32_f16 v103, v121, v7, v103
	;;#ASMEND
	;; [unrolled: 3-line block ×16, first 2 shown]
	ds_read_b128 v[2:5], v39 offset:112
	ds_read_b128 v[6:9], v1 offset:112
	;; [unrolled: 1-line block ×8, first 2 shown]
	s_waitcnt lgkmcnt(6)
	;;#ASMSTART
	v_dot2_f32_f16 v94, v2, v6, v94
	;;#ASMEND
	;;#ASMSTART
	v_dot2_f32_f16 v94, v3, v7, v94
	;;#ASMEND
	;;#ASMSTART
	v_dot2_f32_f16 v94, v4, v8, v94
	;;#ASMEND
	;;#ASMSTART
	v_dot2_f32_f16 v94, v5, v9, v94
	;;#ASMEND
	s_waitcnt lgkmcnt(5)
	;;#ASMSTART
	v_dot2_f32_f16 v91, v2, v10, v91
	;;#ASMEND
	;;#ASMSTART
	v_dot2_f32_f16 v91, v3, v11, v91
	;;#ASMEND
	;;#ASMSTART
	v_dot2_f32_f16 v91, v4, v12, v91
	;;#ASMEND
	;;#ASMSTART
	v_dot2_f32_f16 v91, v5, v13, v91
	;;#ASMEND
	;; [unrolled: 13-line block ×5, first 2 shown]
	;;#ASMSTART
	v_dot2_f32_f16 v95, v112, v10, v95
	;;#ASMEND
	;;#ASMSTART
	v_dot2_f32_f16 v95, v113, v11, v95
	;;#ASMEND
	;; [unrolled: 3-line block ×12, first 2 shown]
	s_waitcnt lgkmcnt(1)
	;;#ASMSTART
	v_dot2_f32_f16 v101, v116, v6, v101
	;;#ASMEND
	;;#ASMSTART
	v_dot2_f32_f16 v101, v117, v7, v101
	;;#ASMEND
	;; [unrolled: 3-line block ×16, first 2 shown]
	s_waitcnt lgkmcnt(0)
	;;#ASMSTART
	v_dot2_f32_f16 v103, v120, v6, v103
	;;#ASMEND
	;;#ASMSTART
	v_dot2_f32_f16 v103, v121, v7, v103
	;;#ASMEND
	;; [unrolled: 3-line block ×13, first 2 shown]
	s_cmpk_gt_u32 s19, 0x17f
	;;#ASMSTART
	v_dot2_f32_f16 v97, v121, v109, v97
	;;#ASMEND
	s_mov_b32 s0, -1
	;;#ASMSTART
	v_dot2_f32_f16 v97, v122, v110, v97
	;;#ASMEND
	;;#ASMSTART
	v_dot2_f32_f16 v97, v123, v111, v97
	;;#ASMEND
	s_cbranch_scc1 .LBB9_18
; %bb.20:                               ;   in Loop: Header=BB9_19 Depth=2
	s_barrier
	s_addk_i32 s19, 0xc0
	s_mov_b32 s0, 0
	buffer_gl0_inv
	s_branch .LBB9_18
.LBB9_21:                               ;   in Loop: Header=BB9_17 Depth=1
	v_add_nc_u32_e32 v1, s8, v18
	s_mul_hi_i32 s19, s8, s9
	s_mul_i32 s18, s8, s9
	v_lshlrev_b32_e32 v86, 2, v31
	s_lshl_b64 s[18:19], s[18:19], 2
	v_ashrrev_i32_e32 v2, 31, v1
	s_add_u32 s0, s12, s18
	s_addc_u32 s15, s13, s19
	v_add_nc_u32_e32 v121, v40, v32
	v_lshlrev_b64 v[1:2], 1, v[1:2]
	v_add_co_u32 v4, vcc_lo, s36, v1
	v_add_co_ci_u32_e64 v5, null, s37, v2, vcc_lo
	s_clause 0x3
	global_load_ushort v1, v[4:5], off
	global_load_ushort v2, v[4:5], off offset:64
	global_load_ushort v3, v[4:5], off offset:128
	;; [unrolled: 1-line block ×3, first 2 shown]
	v_add_co_u32 v5, vcc_lo, s0, v27
	v_add_co_ci_u32_e64 v6, null, s15, v28, vcc_lo
	s_waitcnt vmcnt(0)
	v_add_co_u32 v9, vcc_lo, v5, v86
	v_add_co_ci_u32_e64 v10, null, 0, v6, vcc_lo
	s_barrier
	buffer_gl0_inv
	s_clause 0x1
	global_load_dwordx4 v[5:8], v[9:10], off
	global_load_dwordx4 v[104:107], v[9:10], off offset:512
	v_xor_b32_e32 v9, 16, v34
	v_cmp_gt_i32_e32 vcc_lo, 32, v9
	v_cndmask_b32_e32 v10, v34, v9, vcc_lo
	v_lshlrev_b32_e32 v10, 2, v10
	v_cvt_f32_f16_e32 v1, v1
	v_cvt_f32_f16_e32 v2, v2
	;; [unrolled: 1-line block ×4, first 2 shown]
	v_add_f32_e32 v14, v94, v1
	v_add_f32_e32 v15, v98, v2
	;; [unrolled: 1-line block ×26, first 2 shown]
	v_max3_f32 v1, v87, v1, v2
	v_add_f32_e32 v13, 0x40051340, v99
	v_add_f32_e32 v80, 0x40051340, v102
	;; [unrolled: 1-line block ×6, first 2 shown]
	v_max3_f32 v11, v90, v11, v12
	v_max3_f32 v12, v89, v81, v91
	;; [unrolled: 1-line block ×7, first 2 shown]
	ds_bpermute_b32 v11, v10, v1
	ds_bpermute_b32 v12, v10, v3
	ds_bpermute_b32 v13, v10, v4
	ds_bpermute_b32 v80, v10, v2
	v_xor_b32_e32 v10, 8, v34
	v_cmp_gt_i32_e32 vcc_lo, 32, v10
	v_cndmask_b32_e32 v81, v34, v10, vcc_lo
	s_waitcnt lgkmcnt(3)
	v_max_f32_e32 v11, v11, v11
	v_lshlrev_b32_e32 v81, 2, v81
	s_waitcnt lgkmcnt(2)
	v_max_f32_e32 v12, v12, v12
	s_waitcnt lgkmcnt(1)
	v_max_f32_e32 v13, v13, v13
	s_waitcnt lgkmcnt(0)
	v_max_f32_e32 v80, v80, v80
	v_max_f32_e32 v1, v1, v11
	v_xor_b32_e32 v11, 4, v34
	v_max_f32_e32 v3, v3, v12
	v_max_f32_e32 v4, v4, v13
	v_max_f32_e32 v2, v2, v80
	ds_bpermute_b32 v12, v81, v1
	v_cmp_gt_i32_e32 vcc_lo, 32, v11
	ds_bpermute_b32 v13, v81, v3
	ds_bpermute_b32 v80, v81, v4
	ds_bpermute_b32 v81, v81, v2
	v_cndmask_b32_e32 v91, v34, v11, vcc_lo
	v_lshlrev_b32_e32 v91, 2, v91
	s_waitcnt lgkmcnt(3)
	v_max_f32_e32 v12, v12, v12
	s_waitcnt lgkmcnt(2)
	v_max_f32_e32 v13, v13, v13
	s_waitcnt lgkmcnt(1)
	v_max_f32_e32 v80, v80, v80
	s_waitcnt lgkmcnt(0)
	v_max_f32_e32 v81, v81, v81
	v_max_f32_e32 v1, v1, v12
	v_xor_b32_e32 v12, 2, v34
	v_max_f32_e32 v3, v3, v13
	v_max_f32_e32 v4, v4, v80
	v_max_f32_e32 v2, v2, v81
	ds_bpermute_b32 v13, v91, v1
	v_cmp_gt_i32_e32 vcc_lo, 32, v12
	ds_bpermute_b32 v80, v91, v3
	ds_bpermute_b32 v81, v91, v4
	ds_bpermute_b32 v91, v91, v2
	v_cndmask_b32_e32 v92, v34, v12, vcc_lo
	v_lshlrev_b32_e32 v92, 2, v92
	s_waitcnt lgkmcnt(3)
	v_max_f32_e32 v13, v13, v13
	;; [unrolled: 20-line block ×3, first 2 shown]
	s_waitcnt lgkmcnt(2)
	v_max_f32_e32 v81, v81, v81
	s_waitcnt lgkmcnt(1)
	v_max_f32_e32 v91, v91, v91
	;; [unrolled: 2-line block ×3, first 2 shown]
	v_max_f32_e32 v115, v1, v80
	v_add_co_u32 v1, vcc_lo, s0, v29
	v_max_f32_e32 v3, v3, v81
	v_max_f32_e32 v116, v2, v92
	v_add_co_ci_u32_e64 v2, null, s15, v30, vcc_lo
	v_add_co_u32 v1, vcc_lo, v1, v86
	v_max_f32_e32 v4, v4, v91
	v_add_co_ci_u32_e64 v2, null, 0, v2, vcc_lo
	ds_bpermute_b32 v117, v93, v115
	ds_bpermute_b32 v118, v93, v3
	;; [unrolled: 1-line block ×4, first 2 shown]
	s_clause 0x1
	global_load_dwordx4 v[91:94], v[1:2], off
	global_load_dwordx4 v[95:98], v[1:2], off offset:512
	s_waitcnt vmcnt(3)
	ds_write_b128 v41, v[5:8]
	s_waitcnt vmcnt(2)
	ds_write_b128 v42, v[104:107]
	v_add_nc_u32_e32 v81, 0x9000, v32
	v_add_nc_u32_e32 v80, 0x9800, v32
	s_or_b32 s0, s8, 16
	s_mul_hi_i32 s19, s0, s9
	s_mul_i32 s18, s0, s9
	s_lshl_b64 s[18:19], s[18:19], 2
	s_add_u32 s0, s12, s18
	s_addc_u32 s15, s13, s19
	s_waitcnt lgkmcnt(5)
	v_max_f32_e32 v1, v117, v117
	s_waitcnt lgkmcnt(4)
	v_max_f32_e32 v2, v118, v118
	;; [unrolled: 2-line block ×4, first 2 shown]
	v_max_f32_e32 v1, v115, v1
	v_max_f32_e32 v2, v3, v2
	;; [unrolled: 1-line block ×4, first 2 shown]
	v_sub_f32_e32 v6, v14, v1
	v_sub_f32_e32 v7, v15, v1
	;; [unrolled: 1-line block ×5, first 2 shown]
	v_mul_f32_e32 v107, 0x3fb8aa3b, v6
	v_mul_f32_e32 v108, 0x3fb8aa3b, v7
	v_sub_f32_e32 v14, v101, v1
	v_sub_f32_e32 v101, v109, v3
	v_mul_f32_e32 v109, 0x3fb8aa3b, v8
	v_fma_f32 v128, 0x3fb8aa3b, v6, -v107
	v_rndne_f32_e32 v129, v107
	v_fma_f32 v130, 0x3fb8aa3b, v7, -v108
	v_rndne_f32_e32 v131, v108
	v_sub_f32_e32 v15, v90, v2
	v_fmac_f32_e32 v128, 0x32a5705f, v6
	v_sub_f32_e32 v107, v107, v129
	v_sub_f32_e32 v90, v99, v2
	;; [unrolled: 1-line block ×4, first 2 shown]
	v_mul_f32_e32 v110, 0x3fb8aa3b, v14
	v_fma_f32 v132, 0x3fb8aa3b, v8, -v109
	v_rndne_f32_e32 v133, v109
	v_fmac_f32_e32 v130, 0x32a5705f, v7
	v_sub_f32_e32 v108, v108, v131
	v_add_f32_e32 v107, v107, v128
	v_sub_f32_e32 v16, v103, v2
	v_sub_f32_e32 v103, v111, v3
	v_mul_f32_e32 v111, 0x3fb8aa3b, v5
	v_fma_f32 v134, 0x3fb8aa3b, v14, -v110
	v_rndne_f32_e32 v135, v110
	v_fmac_f32_e32 v132, 0x32a5705f, v8
	v_sub_f32_e32 v109, v109, v133
	v_add_f32_e32 v108, v108, v130
	v_exp_f32_e32 v107, v107
	v_sub_f32_e32 v104, v112, v4
	v_mul_f32_e32 v112, 0x3fb8aa3b, v16
	v_fma_f32 v136, 0x3fb8aa3b, v5, -v111
	v_rndne_f32_e32 v137, v111
	v_cvt_i32_f32_e32 v129, v129
	v_fmac_f32_e32 v134, 0x32a5705f, v14
	v_sub_f32_e32 v110, v110, v135
	v_add_f32_e32 v109, v109, v132
	v_exp_f32_e32 v108, v108
	v_sub_f32_e32 v105, v113, v4
	v_mul_f32_e32 v113, 0x3fb8aa3b, v87
	v_fma_f32 v138, 0x3fb8aa3b, v16, -v112
	v_rndne_f32_e32 v139, v112
	v_cvt_i32_f32_e32 v131, v131
	v_fmac_f32_e32 v136, 0x32a5705f, v5
	v_sub_f32_e32 v111, v111, v137
	v_add_f32_e32 v110, v110, v134
	v_exp_f32_e32 v109, v109
	v_ldexp_f32 v107, v107, v129
	v_cmp_ngt_f32_e32 vcc_lo, 0xc2ce8ed0, v6
	v_sub_f32_e32 v106, v114, v4
	v_mul_f32_e32 v114, 0x3fb8aa3b, v90
	v_fma_f32 v140, 0x3fb8aa3b, v87, -v113
	v_rndne_f32_e32 v141, v113
	v_cvt_i32_f32_e32 v133, v133
	v_fmac_f32_e32 v138, 0x32a5705f, v16
	v_sub_f32_e32 v112, v112, v139
	v_add_f32_e32 v111, v111, v136
	v_exp_f32_e32 v110, v110
	v_ldexp_f32 v108, v108, v131
	v_cndmask_b32_e32 v107, 0, v107, vcc_lo
	v_cmp_ngt_f32_e32 vcc_lo, 0xc2ce8ed0, v7
	v_mul_f32_e32 v115, 0x3fb8aa3b, v99
	v_fma_f32 v142, 0x3fb8aa3b, v90, -v114
	v_rndne_f32_e32 v143, v114
	v_cvt_i32_f32_e32 v135, v135
	v_fmac_f32_e32 v140, 0x32a5705f, v87
	v_sub_f32_e32 v113, v113, v141
	v_add_f32_e32 v112, v112, v138
	v_exp_f32_e32 v111, v111
	v_ldexp_f32 v109, v109, v133
	v_cndmask_b32_e32 v108, 0, v108, vcc_lo
	v_cmp_ngt_f32_e32 vcc_lo, 0xc2ce8ed0, v8
	;; [unrolled: 11-line block ×5, first 2 shown]
	v_sub_f32_e32 v100, v100, v3
	v_mul_f32_e32 v119, 0x3fb8aa3b, v103
	v_fma_f32 v150, 0x3fb8aa3b, v102, -v118
	v_rndne_f32_e32 v151, v118
	v_cvt_i32_f32_e32 v143, v143
	v_fmac_f32_e32 v148, 0x32a5705f, v101
	v_sub_f32_e32 v117, v117, v149
	v_add_f32_e32 v116, v116, v146
	v_exp_f32_e32 v115, v115
	v_ldexp_f32 v113, v113, v141
	v_cndmask_b32_e32 v112, 0, v112, vcc_lo
	v_cmp_ngt_f32_e32 vcc_lo, 0xc2ce8ed0, v87
	v_sub_f32_e32 v89, v89, v3
	v_mul_f32_e32 v120, 0x3fb8aa3b, v100
	v_fma_f32 v152, 0x3fb8aa3b, v103, -v119
	v_rndne_f32_e32 v153, v119
	v_cvt_i32_f32_e32 v145, v145
	v_fmac_f32_e32 v150, 0x32a5705f, v102
	v_sub_f32_e32 v118, v118, v151
	v_add_f32_e32 v117, v117, v148
	v_exp_f32_e32 v116, v116
	v_ldexp_f32 v114, v114, v143
	v_cndmask_b32_e32 v113, 0, v113, vcc_lo
	v_cmp_ngt_f32_e32 vcc_lo, 0xc2ce8ed0, v90
	;; [unrolled: 12-line block ×3, first 2 shown]
	v_mul_f32_e32 v123, 0x3fb8aa3b, v72
	v_fma_f32 v156, 0x3fb8aa3b, v89, -v122
	v_rndne_f32_e32 v157, v122
	v_cvt_i32_f32_e32 v149, v149
	v_fmac_f32_e32 v154, 0x32a5705f, v100
	v_sub_f32_e32 v120, v120, v155
	v_add_f32_e32 v119, v119, v152
	v_exp_f32_e32 v118, v118
	v_ldexp_f32 v116, v116, v147
	v_cndmask_b32_e32 v115, 0, v115, vcc_lo
	v_cmp_ngt_f32_e32 vcc_lo, 0xc2ce8ed0, v15
	v_mul_f32_e32 v124, 0x3fb8aa3b, v104
	v_fma_f32 v158, 0x3fb8aa3b, v72, -v123
	v_rndne_f32_e32 v159, v123
	v_cvt_i32_f32_e32 v151, v151
	v_fmac_f32_e32 v156, 0x32a5705f, v89
	v_sub_f32_e32 v122, v122, v157
	v_add_f32_e32 v120, v120, v154
	v_exp_f32_e32 v119, v119
	v_ldexp_f32 v117, v117, v149
	v_cndmask_b32_e32 v116, 0, v116, vcc_lo
	v_cmp_ngt_f32_e32 vcc_lo, 0xc2ce8ed0, v101
	;; [unrolled: 11-line block ×3, first 2 shown]
	v_sub_f32_e32 v88, v88, v4
	v_mul_f32_e32 v126, 0x3fb8aa3b, v106
	v_fma_f32 v162, 0x3fb8aa3b, v105, -v125
	v_rndne_f32_e32 v163, v125
	v_cvt_i32_f32_e32 v155, v155
	v_fmac_f32_e32 v160, 0x32a5705f, v104
	v_sub_f32_e32 v124, v124, v161
	v_add_f32_e32 v123, v123, v158
	v_exp_f32_e32 v122, v122
	v_ldexp_f32 v119, v119, v153
	v_cndmask_b32_e32 v118, 0, v118, vcc_lo
	v_cmp_ngt_f32_e32 vcc_lo, 0xc2ce8ed0, v103
	v_mul_f32_e32 v127, 0x3fb8aa3b, v88
	v_fma_f32 v164, 0x3fb8aa3b, v106, -v126
	v_rndne_f32_e32 v165, v126
	v_cvt_i32_f32_e32 v157, v157
	v_fmac_f32_e32 v162, 0x32a5705f, v105
	v_sub_f32_e32 v125, v125, v163
	v_add_f32_e32 v124, v124, v160
	v_exp_f32_e32 v123, v123
	v_ldexp_f32 v120, v120, v155
	v_cndmask_b32_e32 v119, 0, v119, vcc_lo
	v_cmp_ngt_f32_e32 vcc_lo, 0xc2ce8ed0, v100
	v_fma_f32 v166, 0x3fb8aa3b, v88, -v127
	v_rndne_f32_e32 v167, v127
	v_cvt_i32_f32_e32 v159, v159
	v_fmac_f32_e32 v164, 0x32a5705f, v106
	v_sub_f32_e32 v126, v126, v165
	v_add_f32_e32 v125, v125, v162
	v_exp_f32_e32 v124, v124
	v_ldexp_f32 v122, v122, v157
	v_cndmask_b32_e32 v120, 0, v120, vcc_lo
	v_cmp_ngt_f32_e32 vcc_lo, 0xc2ce8ed0, v89
	v_cvt_i32_f32_e32 v161, v161
	v_fmac_f32_e32 v166, 0x32a5705f, v88
	v_sub_f32_e32 v127, v127, v167
	v_add_f32_e32 v126, v126, v164
	v_exp_f32_e32 v125, v125
	v_ldexp_f32 v123, v123, v159
	v_cndmask_b32_e32 v122, 0, v122, vcc_lo
	v_cmp_ngt_f32_e32 vcc_lo, 0xc2ce8ed0, v72
	v_cvt_i32_f32_e32 v163, v163
	v_add_f32_e32 v127, v127, v166
	v_exp_f32_e32 v126, v126
	v_ldexp_f32 v124, v124, v161
	v_cndmask_b32_e32 v123, 0, v123, vcc_lo
	v_cmp_ngt_f32_e32 vcc_lo, 0xc2ce8ed0, v104
	v_cvt_i32_f32_e32 v165, v165
	v_exp_f32_e32 v127, v127
	v_ldexp_f32 v125, v125, v163
	v_cvt_i32_f32_e32 v167, v167
	v_cndmask_b32_e32 v124, 0, v124, vcc_lo
	v_cmp_ngt_f32_e32 vcc_lo, 0xc2ce8ed0, v105
	v_ldexp_f32 v126, v126, v165
	v_cndmask_b32_e32 v125, 0, v125, vcc_lo
	v_cmp_ngt_f32_e32 vcc_lo, 0xc2ce8ed0, v106
	v_ldexp_f32 v127, v127, v167
	v_cndmask_b32_e32 v126, 0, v126, vcc_lo
	v_cmp_ngt_f32_e32 vcc_lo, 0xc2ce8ed0, v88
	v_cndmask_b32_e32 v127, 0, v127, vcc_lo
	v_cmp_nlt_f32_e32 vcc_lo, 0x42b17218, v6
	v_cndmask_b32_e32 v6, 0x7f800000, v107, vcc_lo
	v_cmp_nlt_f32_e32 vcc_lo, 0x42b17218, v7
	;; [unrolled: 2-line block ×5, first 2 shown]
	v_cvt_f16_f32_e32 v109, v14
	v_cndmask_b32_e32 v107, 0x7f800000, v111, vcc_lo
	v_cmp_nlt_f32_e32 vcc_lo, 0x42b17218, v16
	v_cvt_f16_f32_e32 v110, v107
	v_cndmask_b32_e32 v5, 0x7f800000, v112, vcc_lo
	v_cmp_nlt_f32_e32 vcc_lo, 0x42b17218, v87
	v_mul_u32_u24_sdwa v110, v110, v46 dst_sel:DWORD dst_unused:UNUSED_PAD src0_sel:WORD_0 src1_sel:DWORD
	v_cvt_f16_f32_e32 v111, v5
	v_cndmask_b32_e32 v16, 0x7f800000, v113, vcc_lo
	v_cmp_nlt_f32_e32 vcc_lo, 0x42b17218, v90
	v_pk_mul_f16 v78, v78, v110
	v_pk_mul_f16 v79, v79, v110
	v_add_f32_e32 v5, v5, v16
	v_cndmask_b32_e32 v87, 0x7f800000, v114, vcc_lo
	v_cmp_nlt_f32_e32 vcc_lo, 0x42b17218, v99
	v_cvt_f16_f32_e32 v16, v16
	v_pk_mul_f16 v77, v77, v110
	v_cvt_f16_f32_e32 v112, v87
	v_cndmask_b32_e32 v99, 0x7f800000, v115, vcc_lo
	v_cmp_nlt_f32_e32 vcc_lo, 0x42b17218, v15
	v_cvt_f16_f32_e32 v113, v99
	v_cndmask_b32_e32 v108, 0x7f800000, v116, vcc_lo
	v_cmp_nlt_f32_e32 vcc_lo, 0x42b17218, v101
	v_cvt_f16_f32_e32 v114, v108
	v_cndmask_b32_e32 v15, 0x7f800000, v117, vcc_lo
	v_cmp_nlt_f32_e32 vcc_lo, 0x42b17218, v102
	v_mul_u32_u24_sdwa v114, v114, v46 dst_sel:DWORD dst_unused:UNUSED_PAD src0_sel:WORD_0 src1_sel:DWORD
	v_cvt_f16_f32_e32 v115, v15
	v_cndmask_b32_e32 v90, 0x7f800000, v118, vcc_lo
	v_cmp_nlt_f32_e32 vcc_lo, 0x42b17218, v103
	v_pk_mul_f16 v70, v70, v114
	v_pk_mul_f16 v69, v69, v114
	v_add_f32_e32 v15, v15, v90
	v_cndmask_b32_e32 v101, 0x7f800000, v119, vcc_lo
	v_cmp_nlt_f32_e32 vcc_lo, 0x42b17218, v100
	v_cvt_f16_f32_e32 v90, v90
	v_pk_mul_f16 v68, v68, v114
	v_cvt_f16_f32_e32 v116, v101
	v_cndmask_b32_e32 v100, 0x7f800000, v120, vcc_lo
	v_cmp_nlt_f32_e32 vcc_lo, 0x42b17218, v89
	v_add_f32_e32 v101, v101, v15
	v_cvt_f16_f32_e32 v117, v100
	v_cndmask_b32_e32 v102, 0x7f800000, v122, vcc_lo
	v_cmp_nlt_f32_e32 vcc_lo, 0x42b17218, v72
	v_cvt_f16_f32_e32 v118, v102
	v_cndmask_b32_e32 v72, 0x7f800000, v123, vcc_lo
	v_cmp_nlt_f32_e32 vcc_lo, 0x42b17218, v104
	v_mul_u32_u24_sdwa v118, v118, v46 dst_sel:DWORD dst_unused:UNUSED_PAD src0_sel:WORD_0 src1_sel:DWORD
	v_cvt_f16_f32_e32 v119, v72
	v_cndmask_b32_e32 v89, 0x7f800000, v124, vcc_lo
	v_cmp_nlt_f32_e32 vcc_lo, 0x42b17218, v105
	v_pk_mul_f16 v62, v62, v118
	v_pk_mul_f16 v61, v61, v118
	v_add_f32_e32 v72, v72, v89
	v_cndmask_b32_e32 v103, 0x7f800000, v125, vcc_lo
	v_cmp_nlt_f32_e32 vcc_lo, 0x42b17218, v106
	v_cvt_f16_f32_e32 v89, v89
	v_cvt_f16_f32_e32 v106, v8
	v_add_f32_e32 v125, v87, v5
	v_cvt_f16_f32_e32 v120, v103
	v_cndmask_b32_e32 v104, 0x7f800000, v126, vcc_lo
	v_cmp_nlt_f32_e32 vcc_lo, 0x42b17218, v88
	v_cvt_f16_f32_e32 v88, v6
	v_add_f32_e32 v6, v6, v7
	v_cvt_f16_f32_e32 v7, v7
	v_cvt_f16_f32_e32 v122, v104
	v_pack_b32_f16 v87, v106, v112
	v_pack_b32_f16 v5, v88, v111
	v_add_f32_e32 v124, v8, v6
	v_pack_b32_f16 v6, v115, v119
	v_pack_b32_f16 v8, v90, v89
	v_pack_b32_f16 v7, v7, v16
	v_pack_b32_f16 v88, v116, v120
	v_pack_b32_f16 v90, v117, v122
	v_pack_b32_f16 v89, v109, v113
	v_cndmask_b32_e32 v105, 0x7f800000, v127, vcc_lo
	v_add_f32_e32 v103, v103, v72
	v_add_f32_e32 v72, v100, v101
	v_pk_mul_f16 v100, v58, v118
	v_pk_mul_f16 v101, v59, v118
	;; [unrolled: 1-line block ×4, first 2 shown]
	ds_write2_b64 v121, v[5:6], v[7:8] offset1:32
	ds_write2_b64 v121, v[87:88], v[89:90] offset0:64 offset1:96
	s_waitcnt vmcnt(1)
	ds_write_b128 v43, v[91:94]
	s_waitcnt vmcnt(0)
	ds_write_b128 v44, v[95:98]
	s_waitcnt lgkmcnt(0)
	s_barrier
	buffer_gl0_inv
	ds_read_b128 v[56:59], v40
	v_cvt_f16_f32_e32 v123, v105
	v_add_f32_e32 v14, v14, v124
	v_pk_mul_f16 v106, v76, v110
	v_pk_mul_f16 v109, v75, v110
	;; [unrolled: 1-line block ×3, first 2 shown]
	v_mul_u32_u24_sdwa v123, v123, v46 dst_sel:DWORD dst_unused:UNUSED_PAD src0_sel:WORD_0 src1_sel:DWORD
	v_pk_mul_f16 v112, v74, v110
	v_add_f32_e32 v15, v99, v125
	v_pk_mul_f16 v99, v66, v114
	v_pk_mul_f16 v113, v67, v114
	;; [unrolled: 1-line block ×4, first 2 shown]
	v_add_f32_e32 v16, v104, v103
	v_pk_mul_f16 v103, v54, v123
	v_pk_mul_f16 v104, v53, v123
	;; [unrolled: 1-line block ×8, first 2 shown]
	ds_read2_b64 v[47:50], v81 offset1:32
	ds_read2_b64 v[51:54], v81 offset0:64 offset1:96
	ds_read_b128 v[64:67], v40 offset:16
	ds_read_b128 v[73:76], v40 offset:32
	;; [unrolled: 1-line block ×3, first 2 shown]
	ds_read2_b64 v[87:90], v81 offset0:128 offset1:160
	ds_read2_b64 v[91:94], v81 offset0:192 offset1:224
	ds_read2_b64 v[95:98], v80 offset1:32
	v_fmac_f32_e32 v14, v82, v107
	v_fmac_f32_e32 v15, v83, v108
	s_waitcnt lgkmcnt(8)
	v_mul_u32_u24_sdwa v82, v56, v46 dst_sel:DWORD dst_unused:UNUSED_PAD src0_sel:WORD_0 src1_sel:DWORD
	v_mul_u32_u24_sdwa v56, v56, v46 dst_sel:DWORD dst_unused:UNUSED_PAD src0_sel:WORD_1 src1_sel:DWORD
	v_mul_u32_u24_sdwa v83, v57, v46 dst_sel:DWORD dst_unused:UNUSED_PAD src0_sel:WORD_0 src1_sel:DWORD
	v_mul_u32_u24_sdwa v57, v57, v46 dst_sel:DWORD dst_unused:UNUSED_PAD src0_sel:WORD_1 src1_sel:DWORD
	v_pk_mul_f16 v60, v60, v118
	v_fmac_f32_e32 v72, v84, v102
	v_fmac_f32_e32 v16, v85, v105
	v_mul_u32_u24_sdwa v84, v58, v46 dst_sel:DWORD dst_unused:UNUSED_PAD src0_sel:WORD_0 src1_sel:DWORD
	v_mul_u32_u24_sdwa v58, v58, v46 dst_sel:DWORD dst_unused:UNUSED_PAD src0_sel:WORD_1 src1_sel:DWORD
	v_mul_u32_u24_sdwa v85, v59, v46 dst_sel:DWORD dst_unused:UNUSED_PAD src0_sel:WORD_0 src1_sel:DWORD
	v_mul_u32_u24_sdwa v59, v59, v46 dst_sel:DWORD dst_unused:UNUSED_PAD src0_sel:WORD_1 src1_sel:DWORD
	s_waitcnt lgkmcnt(7)
	v_pk_mul_f16 v102, v47, v82
	v_pk_mul_f16 v105, v47, v56
	;; [unrolled: 1-line block ×3, first 2 shown]
	v_pk_fma_f16 v47, v47, v57, v103
	v_pk_fma_f16 v78, v48, v82, v78
	;; [unrolled: 1-line block ×13, first 2 shown]
	s_waitcnt lgkmcnt(6)
	v_pk_fma_f16 v104, v51, v82, v109
	v_pk_fma_f16 v106, v51, v56, v113
	;; [unrolled: 1-line block ×17, first 2 shown]
	s_waitcnt lgkmcnt(2)
	v_pk_fma_f16 v71, v87, v59, v47
	v_pk_fma_f16 v78, v88, v84, v78
	;; [unrolled: 1-line block ×13, first 2 shown]
	ds_read2_b64 v[47:50], v80 offset0:64 offset1:96
	v_pk_fma_f16 v63, v63, v114, v105
	v_pk_fma_f16 v55, v55, v118, v107
	s_waitcnt lgkmcnt(2)
	v_pk_fma_f16 v103, v91, v84, v104
	v_pk_fma_f16 v104, v91, v58, v106
	;; [unrolled: 1-line block ×11, first 2 shown]
	v_mul_u32_u24_sdwa v82, v64, v46 dst_sel:DWORD dst_unused:UNUSED_PAD src0_sel:WORD_0 src1_sel:DWORD
	v_mul_u32_u24_sdwa v64, v64, v46 dst_sel:DWORD dst_unused:UNUSED_PAD src0_sel:WORD_1 src1_sel:DWORD
	v_pk_fma_f16 v105, v93, v84, v108
	v_pk_fma_f16 v106, v93, v58, v109
	;; [unrolled: 1-line block ×7, first 2 shown]
	v_mul_u32_u24_sdwa v83, v65, v46 dst_sel:DWORD dst_unused:UNUSED_PAD src0_sel:WORD_0 src1_sel:DWORD
	v_mul_u32_u24_sdwa v65, v65, v46 dst_sel:DWORD dst_unused:UNUSED_PAD src0_sel:WORD_1 src1_sel:DWORD
	v_pk_fma_f16 v59, v94, v59, v54
	s_waitcnt lgkmcnt(1)
	v_pk_fma_f16 v84, v95, v82, v51
	v_pk_fma_f16 v85, v95, v64, v52
	ds_read2_b64 v[51:54], v80 offset0:128 offset1:160
	v_pk_fma_f16 v87, v95, v83, v55
	v_pk_fma_f16 v71, v95, v65, v71
	;; [unrolled: 1-line block ×12, first 2 shown]
	s_waitcnt lgkmcnt(1)
	v_pk_fma_f16 v96, v47, v82, v103
	v_pk_fma_f16 v97, v47, v64, v104
	;; [unrolled: 1-line block ×10, first 2 shown]
	ds_read2_b64 v[55:58], v80 offset0:192 offset1:224
	v_pk_fma_f16 v61, v98, v83, v61
	v_pk_fma_f16 v90, v98, v65, v90
	;; [unrolled: 1-line block ×5, first 2 shown]
	v_mul_u32_u24_sdwa v83, v66, v46 dst_sel:DWORD dst_unused:UNUSED_PAD src0_sel:WORD_0 src1_sel:DWORD
	v_mul_u32_u24_sdwa v66, v66, v46 dst_sel:DWORD dst_unused:UNUSED_PAD src0_sel:WORD_1 src1_sel:DWORD
	v_mul_u32_u24_sdwa v103, v67, v46 dst_sel:DWORD dst_unused:UNUSED_PAD src0_sel:WORD_0 src1_sel:DWORD
	v_mul_u32_u24_sdwa v67, v67, v46 dst_sel:DWORD dst_unused:UNUSED_PAD src0_sel:WORD_1 src1_sel:DWORD
	v_pk_fma_f16 v91, v47, v65, v91
	v_pk_fma_f16 v92, v48, v65, v92
	;; [unrolled: 1-line block ×3, first 2 shown]
	s_waitcnt lgkmcnt(1)
	v_pk_fma_f16 v65, v51, v83, v84
	v_pk_fma_f16 v84, v51, v66, v85
	v_pk_fma_f16 v85, v51, v103, v87
	v_pk_fma_f16 v71, v51, v67, v71
	v_add_nc_u32_e32 v51, 0xa000, v32
	v_pk_fma_f16 v78, v52, v83, v78
	v_pk_fma_f16 v70, v52, v66, v70
	;; [unrolled: 1-line block ×12, first 2 shown]
	s_waitcnt lgkmcnt(0)
	v_pk_fma_f16 v95, v55, v83, v96
	v_pk_fma_f16 v96, v55, v66, v97
	ds_read2_b64 v[47:50], v51 offset1:32
	v_pk_fma_f16 v97, v55, v103, v98
	v_pk_fma_f16 v91, v55, v67, v91
	ds_read2_b64 v[52:55], v51 offset0:64 offset1:96
	v_pk_fma_f16 v77, v56, v83, v77
	v_pk_fma_f16 v68, v56, v66, v68
	v_pk_fma_f16 v60, v56, v103, v60
	v_pk_fma_f16 v56, v56, v67, v92
	v_pk_fma_f16 v92, v57, v83, v99
	v_pk_fma_f16 v98, v57, v66, v100
	v_pk_fma_f16 v99, v57, v103, v101
	v_pk_fma_f16 v57, v57, v67, v102
	v_pk_fma_f16 v63, v58, v83, v63
	v_pk_fma_f16 v64, v58, v66, v64
	v_pk_fma_f16 v66, v58, v103, v82
	v_mul_u32_u24_sdwa v82, v73, v46 dst_sel:DWORD dst_unused:UNUSED_PAD src0_sel:WORD_0 src1_sel:DWORD
	v_mul_u32_u24_sdwa v73, v73, v46 dst_sel:DWORD dst_unused:UNUSED_PAD src0_sel:WORD_1 src1_sel:DWORD
	v_mul_u32_u24_sdwa v83, v74, v46 dst_sel:DWORD dst_unused:UNUSED_PAD src0_sel:WORD_0 src1_sel:DWORD
	v_mul_u32_u24_sdwa v74, v74, v46 dst_sel:DWORD dst_unused:UNUSED_PAD src0_sel:WORD_1 src1_sel:DWORD
	v_pk_fma_f16 v67, v58, v67, v59
	s_waitcnt lgkmcnt(1)
	v_pk_fma_f16 v65, v47, v82, v65
	v_pk_fma_f16 v84, v47, v73, v84
	;; [unrolled: 1-line block ×16, first 2 shown]
	ds_read2_b64 v[47:50], v51 offset0:128 offset1:160
	s_waitcnt lgkmcnt(1)
	v_pk_fma_f16 v77, v53, v82, v77
	v_pk_fma_f16 v68, v53, v73, v68
	;; [unrolled: 1-line block ×8, first 2 shown]
	ds_read2_b64 v[56:59], v51 offset0:192 offset1:224
	v_pk_fma_f16 v95, v52, v82, v95
	v_pk_fma_f16 v96, v52, v73, v96
	;; [unrolled: 1-line block ×6, first 2 shown]
	v_mul_u32_u24_sdwa v73, v75, v46 dst_sel:DWORD dst_unused:UNUSED_PAD src0_sel:WORD_0 src1_sel:DWORD
	v_mul_u32_u24_sdwa v75, v75, v46 dst_sel:DWORD dst_unused:UNUSED_PAD src0_sel:WORD_1 src1_sel:DWORD
	v_mul_u32_u24_sdwa v82, v76, v46 dst_sel:DWORD dst_unused:UNUSED_PAD src0_sel:WORD_0 src1_sel:DWORD
	v_mul_u32_u24_sdwa v76, v76, v46 dst_sel:DWORD dst_unused:UNUSED_PAD src0_sel:WORD_1 src1_sel:DWORD
	v_add_nc_u32_e32 v52, 0xa800, v32
	v_pk_fma_f16 v66, v55, v83, v66
	v_pk_fma_f16 v67, v55, v74, v67
	s_waitcnt lgkmcnt(1)
	v_pk_fma_f16 v74, v47, v75, v84
	v_pk_fma_f16 v83, v47, v82, v85
	v_pk_fma_f16 v84, v48, v76, v87
	v_pk_fma_f16 v85, v49, v73, v88
	v_pk_fma_f16 v87, v49, v75, v93
	v_pk_fma_f16 v88, v49, v82, v94
	s_waitcnt lgkmcnt(0)
	v_pk_fma_f16 v93, v56, v73, v95
	v_pk_fma_f16 v94, v56, v75, v96
	;; [unrolled: 1-line block ×9, first 2 shown]
	ds_read2_b64 v[53:56], v52 offset0:64 offset1:96
	v_pk_fma_f16 v65, v47, v73, v65
	v_pk_fma_f16 v71, v47, v76, v71
	;; [unrolled: 1-line block ×10, first 2 shown]
	ds_read2_b64 v[47:50], v52 offset1:32
	v_mul_u32_u24_sdwa v178, v5, v46 dst_sel:DWORD dst_unused:UNUSED_PAD src0_sel:WORD_0 src1_sel:DWORD
	v_mul_u32_u24_sdwa v179, v5, v46 dst_sel:DWORD dst_unused:UNUSED_PAD src0_sel:WORD_1 src1_sel:DWORD
	v_mul_u32_u24_sdwa v180, v6, v46 dst_sel:DWORD dst_unused:UNUSED_PAD src0_sel:WORD_0 src1_sel:DWORD
	v_mul_u32_u24_sdwa v181, v6, v46 dst_sel:DWORD dst_unused:UNUSED_PAD src0_sel:WORD_1 src1_sel:DWORD
	v_add_co_u32 v5, vcc_lo, s0, v27
	v_add_co_ci_u32_e64 v6, null, s15, v28, vcc_lo
	s_waitcnt lgkmcnt(1)
	v_pk_fma_f16 v194, v53, v178, v93
	v_pk_fma_f16 v195, v53, v179, v94
	;; [unrolled: 1-line block ×4, first 2 shown]
	v_add_co_u32 v53, vcc_lo, s0, v29
	v_pk_fma_f16 v77, v54, v178, v77
	v_pk_fma_f16 v198, v54, v179, v68
	;; [unrolled: 1-line block ×4, first 2 shown]
	v_add_co_ci_u32_e64 v54, null, s15, v30, vcc_lo
	v_add_co_u32 v5, vcc_lo, v5, v86
	s_waitcnt lgkmcnt(0)
	v_pk_fma_f16 v183, v47, v178, v65
	v_pk_fma_f16 v184, v47, v179, v74
	;; [unrolled: 1-line block ×12, first 2 shown]
	v_add_nc_u32_e32 v50, 0xb000, v32
	v_add_nc_u32_e32 v48, 0xc000, v32
	;; [unrolled: 1-line block ×3, first 2 shown]
	v_add_co_ci_u32_e64 v6, null, 0, v6, vcc_lo
	v_add_co_u32 v53, vcc_lo, v53, v86
	v_pk_fma_f16 v188, v49, v178, v85
	v_pk_fma_f16 v189, v49, v179, v87
	;; [unrolled: 1-line block ×4, first 2 shown]
	v_add_nc_u32_e32 v49, 0xb800, v32
	v_add_co_ci_u32_e64 v54, null, 0, v54, vcc_lo
	v_pk_fma_f16 v171, v58, v73, v92
	v_pk_fma_f16 v172, v58, v75, v98
	;; [unrolled: 1-line block ×7, first 2 shown]
	ds_read2_b64 v[57:60], v52 offset0:128 offset1:160
	ds_read2_b64 v[61:64], v52 offset0:192 offset1:224
	ds_read2_b64 v[65:68], v50 offset1:32
	ds_read2_b64 v[73:76], v50 offset0:64 offset1:96
	ds_read2_b64 v[82:85], v50 offset0:128 offset1:160
	ds_read2_b64 v[87:90], v50 offset0:192 offset1:224
	ds_read2_b64 v[91:94], v49 offset1:32
	ds_read2_b64 v[95:98], v49 offset0:64 offset1:96
	ds_read_b128 v[99:102], v40 offset:64
	ds_read_b128 v[103:106], v40 offset:80
	ds_read2_b64 v[107:110], v49 offset0:128 offset1:160
	ds_read2_b64 v[111:114], v49 offset0:192 offset1:224
	ds_read2_b64 v[115:118], v48 offset1:32
	ds_read2_b64 v[119:122], v48 offset0:64 offset1:96
	ds_read2_b64 v[123:126], v48 offset0:128 offset1:160
	;; [unrolled: 1-line block ×3, first 2 shown]
	ds_read2_b64 v[131:134], v47 offset1:32
	ds_read2_b64 v[135:138], v47 offset0:64 offset1:96
	ds_read_b128 v[139:142], v40 offset:96
	ds_read_b128 v[143:146], v40 offset:112
	ds_read2_b64 v[147:150], v47 offset0:128 offset1:160
	ds_read2_b64 v[151:154], v47 offset0:192 offset1:224
	s_waitcnt lgkmcnt(0)
	s_barrier
	buffer_gl0_inv
	s_clause 0x3
	global_load_dwordx4 v[155:158], v[5:6], off
	global_load_dwordx4 v[159:162], v[5:6], off offset:512
	global_load_dwordx4 v[163:166], v[53:54], off
	global_load_dwordx4 v[167:170], v[53:54], off offset:512
	v_pk_fma_f16 v5, v55, v178, v171
	v_pk_fma_f16 v6, v55, v179, v172
	;; [unrolled: 1-line block ×7, first 2 shown]
	v_mul_u32_u24_sdwa v173, v7, v46 dst_sel:DWORD dst_unused:UNUSED_PAD src0_sel:WORD_0 src1_sel:DWORD
	v_mul_u32_u24_sdwa v7, v7, v46 dst_sel:DWORD dst_unused:UNUSED_PAD src0_sel:WORD_1 src1_sel:DWORD
	v_mul_u32_u24_sdwa v174, v8, v46 dst_sel:DWORD dst_unused:UNUSED_PAD src0_sel:WORD_0 src1_sel:DWORD
	v_mul_u32_u24_sdwa v8, v8, v46 dst_sel:DWORD dst_unused:UNUSED_PAD src0_sel:WORD_1 src1_sel:DWORD
	v_pk_fma_f16 v56, v56, v181, v182
	v_pk_fma_f16 v175, v57, v173, v183
	;; [unrolled: 1-line block ×32, first 2 shown]
	v_mul_u32_u24_sdwa v171, v99, v46 dst_sel:DWORD dst_unused:UNUSED_PAD src0_sel:WORD_0 src1_sel:DWORD
	v_mul_u32_u24_sdwa v99, v99, v46 dst_sel:DWORD dst_unused:UNUSED_PAD src0_sel:WORD_1 src1_sel:DWORD
	v_mul_u32_u24_sdwa v172, v100, v46 dst_sel:DWORD dst_unused:UNUSED_PAD src0_sel:WORD_0 src1_sel:DWORD
	v_mul_u32_u24_sdwa v100, v100, v46 dst_sel:DWORD dst_unused:UNUSED_PAD src0_sel:WORD_1 src1_sel:DWORD
	v_pk_fma_f16 v8, v64, v8, v56
	v_pk_fma_f16 v56, v65, v171, v175
	;; [unrolled: 1-line block ×31, first 2 shown]
	v_mul_u32_u24_sdwa v74, v101, v46 dst_sel:DWORD dst_unused:UNUSED_PAD src0_sel:WORD_0 src1_sel:DWORD
	v_mul_u32_u24_sdwa v75, v101, v46 dst_sel:DWORD dst_unused:UNUSED_PAD src0_sel:WORD_1 src1_sel:DWORD
	v_mul_u32_u24_sdwa v99, v102, v46 dst_sel:DWORD dst_unused:UNUSED_PAD src0_sel:WORD_0 src1_sel:DWORD
	v_mul_u32_u24_sdwa v101, v102, v46 dst_sel:DWORD dst_unused:UNUSED_PAD src0_sel:WORD_1 src1_sel:DWORD
	v_pk_fma_f16 v63, v76, v172, v63
	v_pk_fma_f16 v8, v76, v100, v8
	;; [unrolled: 1-line block ×20, first 2 shown]
	v_mul_u32_u24_sdwa v74, v103, v46 dst_sel:DWORD dst_unused:UNUSED_PAD src0_sel:WORD_0 src1_sel:DWORD
	v_mul_u32_u24_sdwa v75, v103, v46 dst_sel:DWORD dst_unused:UNUSED_PAD src0_sel:WORD_1 src1_sel:DWORD
	v_pk_fma_f16 v76, v82, v99, v173
	v_pk_fma_f16 v57, v82, v101, v57
	v_pk_fma_f16 v82, v84, v99, v174
	v_pk_fma_f16 v59, v84, v101, v59
	v_pk_fma_f16 v79, v85, v99, v79
	v_pk_fma_f16 v60, v85, v101, v60
	v_pk_fma_f16 v84, v87, v99, v176
	v_pk_fma_f16 v61, v87, v101, v61
	v_pk_fma_f16 v85, v88, v99, v177
	v_pk_fma_f16 v62, v88, v101, v62
	v_pk_fma_f16 v53, v89, v99, v53
	v_pk_fma_f16 v54, v89, v101, v54
	v_pk_fma_f16 v63, v90, v99, v63
	v_mul_u32_u24_sdwa v87, v104, v46 dst_sel:DWORD dst_unused:UNUSED_PAD src0_sel:WORD_0 src1_sel:DWORD
	v_mul_u32_u24_sdwa v88, v104, v46 dst_sel:DWORD dst_unused:UNUSED_PAD src0_sel:WORD_1 src1_sel:DWORD
	v_pk_fma_f16 v8, v90, v101, v8
	v_pk_fma_f16 v56, v91, v74, v56
	v_pk_fma_f16 v64, v91, v75, v64
	v_pk_fma_f16 v65, v92, v74, v65
	v_pk_fma_f16 v70, v92, v75, v70
	v_pk_fma_f16 v66, v93, v74, v66
	v_pk_fma_f16 v78, v93, v75, v78
	v_pk_fma_f16 v67, v94, v74, v67
	v_pk_fma_f16 v69, v94, v75, v69
	v_pk_fma_f16 v68, v95, v74, v68
	v_pk_fma_f16 v83, v95, v75, v83
	v_pk_fma_f16 v73, v96, v74, v73
	v_pk_fma_f16 v77, v96, v75, v77
	v_pk_fma_f16 v5, v97, v74, v5
	v_pk_fma_f16 v6, v97, v75, v6
	v_pk_fma_f16 v55, v98, v74, v55
	v_pk_fma_f16 v7, v98, v75, v7
	v_mul_u32_u24_sdwa v74, v105, v46 dst_sel:DWORD dst_unused:UNUSED_PAD src0_sel:WORD_0 src1_sel:DWORD
	v_mul_u32_u24_sdwa v75, v105, v46 dst_sel:DWORD dst_unused:UNUSED_PAD src0_sel:WORD_1 src1_sel:DWORD
	v_pk_fma_f16 v76, v91, v87, v76
	v_pk_fma_f16 v57, v91, v88, v57
	v_pk_fma_f16 v71, v92, v87, v71
	v_pk_fma_f16 v58, v92, v88, v58
	v_pk_fma_f16 v82, v93, v87, v82
	v_pk_fma_f16 v59, v93, v88, v59
	v_pk_fma_f16 v79, v94, v87, v79
	v_pk_fma_f16 v60, v94, v88, v60
	v_pk_fma_f16 v84, v95, v87, v84
	v_pk_fma_f16 v61, v95, v88, v61
	v_pk_fma_f16 v85, v96, v87, v85
	v_pk_fma_f16 v62, v96, v88, v62
	v_pk_fma_f16 v53, v97, v87, v53
	v_pk_fma_f16 v54, v97, v88, v54
	v_pk_fma_f16 v63, v98, v87, v63
	v_mul_u32_u24_sdwa v87, v106, v46 dst_sel:DWORD dst_unused:UNUSED_PAD src0_sel:WORD_0 src1_sel:DWORD
	v_mul_u32_u24_sdwa v89, v106, v46 dst_sel:DWORD dst_unused:UNUSED_PAD src0_sel:WORD_1 src1_sel:DWORD
	v_pk_fma_f16 v8, v98, v88, v8
	v_pk_fma_f16 v56, v107, v74, v56
	v_pk_fma_f16 v64, v107, v75, v64
	v_pk_fma_f16 v65, v108, v74, v65
	v_pk_fma_f16 v70, v108, v75, v70
	v_pk_fma_f16 v66, v109, v74, v66
	v_pk_fma_f16 v78, v109, v75, v78
	v_pk_fma_f16 v67, v110, v74, v67
	v_pk_fma_f16 v69, v110, v75, v69
	v_pk_fma_f16 v68, v111, v74, v68
	v_pk_fma_f16 v83, v111, v75, v83
	v_pk_fma_f16 v73, v112, v74, v73
	v_pk_fma_f16 v77, v112, v75, v77
	v_pk_fma_f16 v5, v113, v74, v5
	v_pk_fma_f16 v6, v113, v75, v6
	v_pk_fma_f16 v55, v114, v74, v55
	v_pk_fma_f16 v7, v114, v75, v7
	v_mul_u32_u24_sdwa v74, v139, v46 dst_sel:DWORD dst_unused:UNUSED_PAD src0_sel:WORD_0 src1_sel:DWORD
	v_mul_u32_u24_sdwa v75, v139, v46 dst_sel:DWORD dst_unused:UNUSED_PAD src0_sel:WORD_1 src1_sel:DWORD
	v_pk_fma_f16 v76, v107, v87, v76
	v_pk_fma_f16 v57, v107, v89, v57
	;; [unrolled: 36-line block ×4, first 2 shown]
	v_pk_fma_f16 v71, v124, v87, v71
	v_pk_fma_f16 v58, v124, v89, v58
	;; [unrolled: 1-line block ×13, first 2 shown]
	v_mul_u32_u24_sdwa v87, v144, v46 dst_sel:DWORD dst_unused:UNUSED_PAD src0_sel:WORD_0 src1_sel:DWORD
	v_mul_u32_u24_sdwa v88, v144, v46 dst_sel:DWORD dst_unused:UNUSED_PAD src0_sel:WORD_1 src1_sel:DWORD
	v_pk_fma_f16 v8, v130, v89, v8
	v_pk_fma_f16 v56, v131, v74, v56
	;; [unrolled: 1-line block ×10, first 2 shown]
	v_mul_u32_u24_sdwa v75, v145, v46 dst_sel:DWORD dst_unused:UNUSED_PAD src0_sel:WORD_0 src1_sel:DWORD
	v_pk_fma_f16 v57, v131, v88, v57
	v_pk_fma_f16 v65, v132, v74, v65
	;; [unrolled: 1-line block ×15, first 2 shown]
	v_mul_u32_u24_sdwa v92, v146, v46 dst_sel:DWORD dst_unused:UNUSED_PAD src0_sel:WORD_1 src1_sel:DWORD
	v_pk_fma_f16 v8, v138, v88, v8
	v_pk_fma_f16 v88, v147, v75, v56
	s_waitcnt vmcnt(3)
	ds_write_b128 v41, v[155:158]
	s_waitcnt vmcnt(2)
	ds_write_b128 v42, v[159:162]
	;; [unrolled: 2-line block ×4, first 2 shown]
	s_waitcnt lgkmcnt(0)
	s_barrier
	buffer_gl0_inv
	ds_read_b128 v[53:56], v40 offset:128
	v_pk_fma_f16 v95, v147, v92, v57
	v_pk_fma_f16 v97, v148, v92, v58
	;; [unrolled: 1-line block ×4, first 2 shown]
	ds_read2_b64 v[57:60], v81 offset1:32
	v_pk_fma_f16 v76, v131, v87, v76
	v_pk_fma_f16 v71, v132, v87, v71
	;; [unrolled: 1-line block ×7, first 2 shown]
	v_mul_u32_u24_sdwa v87, v145, v46 dst_sel:DWORD dst_unused:UNUSED_PAD src0_sel:WORD_1 src1_sel:DWORD
	v_mul_u32_u24_sdwa v91, v146, v46 dst_sel:DWORD dst_unused:UNUSED_PAD src0_sel:WORD_0 src1_sel:DWORD
	v_pk_fma_f16 v96, v148, v75, v65
	v_pk_fma_f16 v98, v149, v75, v66
	;; [unrolled: 1-line block ×11, first 2 shown]
	s_waitcnt lgkmcnt(1)
	v_mul_u32_u24_sdwa v109, v53, v46 dst_sel:DWORD dst_unused:UNUSED_PAD src0_sel:WORD_0 src1_sel:DWORD
	v_mul_u32_u24_sdwa v53, v53, v46 dst_sel:DWORD dst_unused:UNUSED_PAD src0_sel:WORD_1 src1_sel:DWORD
	v_mul_u32_u24_sdwa v110, v54, v46 dst_sel:DWORD dst_unused:UNUSED_PAD src0_sel:WORD_0 src1_sel:DWORD
	v_mul_u32_u24_sdwa v54, v54, v46 dst_sel:DWORD dst_unused:UNUSED_PAD src0_sel:WORD_1 src1_sel:DWORD
	v_pk_fma_f16 v102, v151, v75, v68
	v_pk_fma_f16 v84, v151, v91, v84
	v_pk_fma_f16 v103, v151, v92, v61
	v_pk_fma_f16 v85, v152, v91, v85
	v_pk_fma_f16 v105, v152, v92, v62
	v_pk_fma_f16 v89, v153, v91, v89
	v_pk_fma_f16 v91, v154, v91, v63
	ds_read2_b64 v[61:64], v81 offset0:64 offset1:96
	ds_read_b128 v[65:68], v40 offset:144
	v_pk_fma_f16 v83, v151, v87, v83
	v_pk_fma_f16 v104, v152, v75, v73
	;; [unrolled: 1-line block ×9, first 2 shown]
	ds_read_b128 v[73:76], v40 offset:160
	ds_read_b128 v[5:8], v40 offset:176
	s_waitcnt lgkmcnt(4)
	v_pk_fma_f16 v88, v57, v109, v88
	v_pk_fma_f16 v93, v57, v53, v93
	;; [unrolled: 1-line block ×16, first 2 shown]
	ds_read2_b64 v[57:60], v81 offset0:128 offset1:160
	s_waitcnt lgkmcnt(4)
	v_pk_fma_f16 v102, v61, v109, v102
	v_pk_fma_f16 v112, v61, v53, v83
	;; [unrolled: 1-line block ×14, first 2 shown]
	ds_read2_b64 v[82:85], v81 offset0:192 offset1:224
	v_mul_u32_u24_sdwa v107, v55, v46 dst_sel:DWORD dst_unused:UNUSED_PAD src0_sel:WORD_0 src1_sel:DWORD
	v_mul_u32_u24_sdwa v108, v55, v46 dst_sel:DWORD dst_unused:UNUSED_PAD src0_sel:WORD_1 src1_sel:DWORD
	v_mul_u32_u24_sdwa v109, v56, v46 dst_sel:DWORD dst_unused:UNUSED_PAD src0_sel:WORD_0 src1_sel:DWORD
	v_mul_u32_u24_sdwa v110, v56, v46 dst_sel:DWORD dst_unused:UNUSED_PAD src0_sel:WORD_1 src1_sel:DWORD
	v_pk_fma_f16 v87, v64, v53, v87
	v_pk_fma_f16 v64, v64, v54, v92
	s_waitcnt lgkmcnt(1)
	v_pk_fma_f16 v88, v57, v107, v88
	v_pk_fma_f16 v92, v57, v108, v93
	;; [unrolled: 1-line block ×16, first 2 shown]
	ds_read2_b64 v[53:56], v80 offset1:32
	ds_read2_b64 v[57:60], v80 offset0:64 offset1:96
	s_waitcnt lgkmcnt(2)
	v_pk_fma_f16 v102, v82, v107, v102
	v_pk_fma_f16 v111, v82, v108, v112
	;; [unrolled: 1-line block ×14, first 2 shown]
	v_mul_u32_u24_sdwa v91, v65, v46 dst_sel:DWORD dst_unused:UNUSED_PAD src0_sel:WORD_0 src1_sel:DWORD
	v_mul_u32_u24_sdwa v65, v65, v46 dst_sel:DWORD dst_unused:UNUSED_PAD src0_sel:WORD_1 src1_sel:DWORD
	v_mul_u32_u24_sdwa v105, v66, v46 dst_sel:DWORD dst_unused:UNUSED_PAD src0_sel:WORD_0 src1_sel:DWORD
	v_mul_u32_u24_sdwa v66, v66, v46 dst_sel:DWORD dst_unused:UNUSED_PAD src0_sel:WORD_1 src1_sel:DWORD
	v_pk_fma_f16 v87, v85, v108, v87
	v_pk_fma_f16 v85, v85, v110, v64
	s_waitcnt lgkmcnt(1)
	v_pk_fma_f16 v88, v53, v91, v88
	v_pk_fma_f16 v92, v53, v65, v92
	;; [unrolled: 1-line block ×16, first 2 shown]
	s_waitcnt lgkmcnt(0)
	v_pk_fma_f16 v102, v57, v91, v102
	v_pk_fma_f16 v106, v57, v65, v111
	ds_read2_b64 v[53:56], v80 offset0:128 offset1:160
	v_pk_fma_f16 v107, v57, v105, v112
	v_pk_fma_f16 v57, v57, v66, v61
	;; [unrolled: 1-line block ×10, first 2 shown]
	ds_read2_b64 v[61:64], v80 offset0:192 offset1:224
	v_pk_fma_f16 v84, v60, v91, v84
	v_pk_fma_f16 v65, v60, v65, v87
	;; [unrolled: 1-line block ×3, first 2 shown]
	v_mul_u32_u24_sdwa v90, v67, v46 dst_sel:DWORD dst_unused:UNUSED_PAD src0_sel:WORD_0 src1_sel:DWORD
	v_mul_u32_u24_sdwa v67, v67, v46 dst_sel:DWORD dst_unused:UNUSED_PAD src0_sel:WORD_1 src1_sel:DWORD
	v_mul_u32_u24_sdwa v91, v68, v46 dst_sel:DWORD dst_unused:UNUSED_PAD src0_sel:WORD_0 src1_sel:DWORD
	v_mul_u32_u24_sdwa v68, v68, v46 dst_sel:DWORD dst_unused:UNUSED_PAD src0_sel:WORD_1 src1_sel:DWORD
	v_pk_fma_f16 v66, v60, v66, v85
	s_waitcnt lgkmcnt(1)
	v_pk_fma_f16 v85, v53, v90, v88
	v_pk_fma_f16 v88, v53, v67, v92
	;; [unrolled: 1-line block ×16, first 2 shown]
	s_waitcnt lgkmcnt(0)
	v_pk_fma_f16 v101, v61, v90, v102
	v_pk_fma_f16 v102, v61, v67, v106
	ds_read2_b64 v[53:56], v51 offset1:32
	v_pk_fma_f16 v105, v61, v91, v107
	v_pk_fma_f16 v61, v61, v68, v57
	;; [unrolled: 1-line block ×10, first 2 shown]
	ds_read2_b64 v[57:60], v51 offset0:64 offset1:96
	v_pk_fma_f16 v84, v64, v90, v84
	v_pk_fma_f16 v65, v64, v67, v65
	;; [unrolled: 1-line block ×3, first 2 shown]
	v_mul_u32_u24_sdwa v87, v73, v46 dst_sel:DWORD dst_unused:UNUSED_PAD src0_sel:WORD_0 src1_sel:DWORD
	v_mul_u32_u24_sdwa v73, v73, v46 dst_sel:DWORD dst_unused:UNUSED_PAD src0_sel:WORD_1 src1_sel:DWORD
	v_mul_u32_u24_sdwa v90, v74, v46 dst_sel:DWORD dst_unused:UNUSED_PAD src0_sel:WORD_0 src1_sel:DWORD
	v_mul_u32_u24_sdwa v74, v74, v46 dst_sel:DWORD dst_unused:UNUSED_PAD src0_sel:WORD_1 src1_sel:DWORD
	v_pk_fma_f16 v66, v64, v68, v66
	s_waitcnt lgkmcnt(1)
	v_pk_fma_f16 v68, v53, v87, v85
	v_pk_fma_f16 v85, v53, v73, v88
	;; [unrolled: 1-line block ×16, first 2 shown]
	s_waitcnt lgkmcnt(0)
	v_pk_fma_f16 v99, v57, v87, v101
	v_pk_fma_f16 v100, v57, v73, v102
	ds_read2_b64 v[53:56], v51 offset0:128 offset1:160
	v_pk_fma_f16 v101, v57, v90, v105
	v_pk_fma_f16 v57, v57, v74, v61
	;; [unrolled: 1-line block ×10, first 2 shown]
	ds_read2_b64 v[61:64], v51 offset0:192 offset1:224
	v_pk_fma_f16 v84, v60, v87, v84
	v_pk_fma_f16 v65, v60, v73, v65
	v_mul_u32_u24_sdwa v73, v75, v46 dst_sel:DWORD dst_unused:UNUSED_PAD src0_sel:WORD_0 src1_sel:DWORD
	v_mul_u32_u24_sdwa v75, v75, v46 dst_sel:DWORD dst_unused:UNUSED_PAD src0_sel:WORD_1 src1_sel:DWORD
	v_mul_u32_u24_sdwa v87, v76, v46 dst_sel:DWORD dst_unused:UNUSED_PAD src0_sel:WORD_0 src1_sel:DWORD
	v_mul_u32_u24_sdwa v76, v76, v46 dst_sel:DWORD dst_unused:UNUSED_PAD src0_sel:WORD_1 src1_sel:DWORD
	v_pk_fma_f16 v67, v60, v90, v67
	v_pk_fma_f16 v66, v60, v74, v66
	s_waitcnt lgkmcnt(1)
	v_pk_fma_f16 v74, v53, v75, v85
	v_pk_fma_f16 v85, v53, v87, v88
	;; [unrolled: 1-line block ×11, first 2 shown]
	s_waitcnt lgkmcnt(0)
	v_pk_fma_f16 v97, v61, v73, v99
	v_pk_fma_f16 v98, v61, v75, v100
	;; [unrolled: 1-line block ×9, first 2 shown]
	ds_read2_b64 v[57:60], v52 offset0:64 offset1:96
	v_pk_fma_f16 v70, v54, v75, v70
	v_pk_fma_f16 v71, v54, v87, v71
	;; [unrolled: 1-line block ×5, first 2 shown]
	ds_read2_b64 v[53:56], v52 offset1:32
	s_or_b32 s0, s8, 32
	v_mul_u32_u24_sdwa v178, v5, v46 dst_sel:DWORD dst_unused:UNUSED_PAD src0_sel:WORD_0 src1_sel:DWORD
	s_mul_hi_i32 s19, s0, s9
	s_mul_i32 s18, s0, s9
	v_mul_u32_u24_sdwa v179, v5, v46 dst_sel:DWORD dst_unused:UNUSED_PAD src0_sel:WORD_1 src1_sel:DWORD
	s_lshl_b64 s[18:19], s[18:19], 2
	v_mul_u32_u24_sdwa v180, v6, v46 dst_sel:DWORD dst_unused:UNUSED_PAD src0_sel:WORD_0 src1_sel:DWORD
	v_mul_u32_u24_sdwa v181, v6, v46 dst_sel:DWORD dst_unused:UNUSED_PAD src0_sel:WORD_1 src1_sel:DWORD
	s_add_u32 s0, s12, s18
	s_addc_u32 s15, s13, s19
	v_add_co_u32 v5, vcc_lo, s0, v27
	v_add_co_ci_u32_e64 v6, null, s15, v28, vcc_lo
	s_waitcnt lgkmcnt(1)
	v_pk_fma_f16 v194, v57, v178, v97
	v_pk_fma_f16 v195, v57, v179, v98
	v_pk_fma_f16 v196, v57, v180, v99
	v_pk_fma_f16 v197, v57, v181, v61
	v_add_co_u32 v57, vcc_lo, s0, v29
	v_pk_fma_f16 v198, v58, v178, v82
	v_pk_fma_f16 v77, v58, v179, v77
	;; [unrolled: 1-line block ×4, first 2 shown]
	v_add_co_ci_u32_e64 v58, null, s15, v30, vcc_lo
	v_add_co_u32 v5, vcc_lo, v5, v86
	v_add_co_ci_u32_e64 v6, null, 0, v6, vcc_lo
	v_add_co_u32 v57, vcc_lo, v57, v86
	v_add_co_ci_u32_e64 v58, null, 0, v58, vcc_lo
	v_pk_fma_f16 v171, v63, v73, v83
	v_pk_fma_f16 v172, v63, v75, v103
	;; [unrolled: 1-line block ×7, first 2 shown]
	s_waitcnt lgkmcnt(0)
	v_pk_fma_f16 v183, v53, v178, v68
	v_pk_fma_f16 v184, v53, v179, v74
	v_pk_fma_f16 v185, v53, v180, v85
	v_pk_fma_f16 v186, v53, v181, v88
	v_pk_fma_f16 v187, v54, v178, v90
	v_pk_fma_f16 v70, v54, v179, v70
	v_pk_fma_f16 v71, v54, v180, v71
	v_pk_fma_f16 v188, v54, v181, v91
	v_pk_fma_f16 v189, v55, v178, v92
	v_pk_fma_f16 v78, v55, v179, v78
	v_pk_fma_f16 v190, v55, v180, v93
	v_pk_fma_f16 v191, v55, v181, v94
	v_pk_fma_f16 v192, v56, v178, v95
	v_pk_fma_f16 v69, v56, v179, v69
	v_pk_fma_f16 v79, v56, v180, v79
	v_pk_fma_f16 v193, v56, v181, v96
	ds_read2_b64 v[53:56], v52 offset0:128 offset1:160
	ds_read2_b64 v[61:64], v52 offset0:192 offset1:224
	ds_read2_b64 v[65:68], v50 offset1:32
	ds_read2_b64 v[73:76], v50 offset0:64 offset1:96
	ds_read2_b64 v[82:85], v50 offset0:128 offset1:160
	;; [unrolled: 1-line block ×3, first 2 shown]
	ds_read2_b64 v[91:94], v49 offset1:32
	ds_read2_b64 v[95:98], v49 offset0:64 offset1:96
	ds_read_b128 v[99:102], v40 offset:192
	ds_read_b128 v[103:106], v40 offset:208
	ds_read2_b64 v[107:110], v49 offset0:128 offset1:160
	ds_read2_b64 v[111:114], v49 offset0:192 offset1:224
	ds_read2_b64 v[115:118], v48 offset1:32
	ds_read2_b64 v[119:122], v48 offset0:64 offset1:96
	ds_read2_b64 v[123:126], v48 offset0:128 offset1:160
	;; [unrolled: 1-line block ×3, first 2 shown]
	ds_read2_b64 v[131:134], v47 offset1:32
	ds_read2_b64 v[135:138], v47 offset0:64 offset1:96
	ds_read_b128 v[139:142], v40 offset:224
	ds_read_b128 v[143:146], v40 offset:240
	ds_read2_b64 v[147:150], v47 offset0:128 offset1:160
	ds_read2_b64 v[151:154], v47 offset0:192 offset1:224
	s_waitcnt lgkmcnt(0)
	s_barrier
	buffer_gl0_inv
	s_clause 0x3
	global_load_dwordx4 v[155:158], v[5:6], off
	global_load_dwordx4 v[159:162], v[5:6], off offset:512
	global_load_dwordx4 v[163:166], v[57:58], off
	global_load_dwordx4 v[167:170], v[57:58], off offset:512
	v_pk_fma_f16 v5, v59, v178, v171
	v_pk_fma_f16 v6, v59, v179, v172
	;; [unrolled: 1-line block ×6, first 2 shown]
	v_mul_u32_u24_sdwa v173, v7, v46 dst_sel:DWORD dst_unused:UNUSED_PAD src0_sel:WORD_0 src1_sel:DWORD
	v_mul_u32_u24_sdwa v7, v7, v46 dst_sel:DWORD dst_unused:UNUSED_PAD src0_sel:WORD_1 src1_sel:DWORD
	v_mul_u32_u24_sdwa v174, v8, v46 dst_sel:DWORD dst_unused:UNUSED_PAD src0_sel:WORD_0 src1_sel:DWORD
	v_mul_u32_u24_sdwa v8, v8, v46 dst_sel:DWORD dst_unused:UNUSED_PAD src0_sel:WORD_1 src1_sel:DWORD
	v_pk_fma_f16 v59, v60, v178, v175
	v_pk_fma_f16 v60, v60, v181, v182
	;; [unrolled: 1-line block ×32, first 2 shown]
	v_mul_u32_u24_sdwa v171, v99, v46 dst_sel:DWORD dst_unused:UNUSED_PAD src0_sel:WORD_0 src1_sel:DWORD
	v_mul_u32_u24_sdwa v99, v99, v46 dst_sel:DWORD dst_unused:UNUSED_PAD src0_sel:WORD_1 src1_sel:DWORD
	v_mul_u32_u24_sdwa v172, v100, v46 dst_sel:DWORD dst_unused:UNUSED_PAD src0_sel:WORD_0 src1_sel:DWORD
	v_mul_u32_u24_sdwa v100, v100, v46 dst_sel:DWORD dst_unused:UNUSED_PAD src0_sel:WORD_1 src1_sel:DWORD
	v_pk_fma_f16 v59, v64, v173, v59
	v_pk_fma_f16 v8, v64, v8, v60
	v_pk_fma_f16 v60, v65, v171, v175
	v_pk_fma_f16 v64, v65, v99, v176
	v_pk_fma_f16 v173, v65, v172, v177
	v_pk_fma_f16 v53, v65, v100, v53
	v_pk_fma_f16 v65, v66, v171, v178
	v_pk_fma_f16 v70, v66, v99, v70
	v_pk_fma_f16 v71, v66, v172, v71
	v_pk_fma_f16 v54, v66, v100, v54
	v_pk_fma_f16 v66, v67, v171, v179
	v_pk_fma_f16 v78, v67, v99, v78
	v_pk_fma_f16 v174, v67, v172, v180
	v_pk_fma_f16 v55, v67, v100, v55
	v_pk_fma_f16 v67, v68, v171, v181
	v_pk_fma_f16 v69, v68, v99, v69
	v_pk_fma_f16 v79, v68, v172, v79
	v_pk_fma_f16 v56, v68, v100, v56
	v_pk_fma_f16 v68, v73, v171, v182
	v_pk_fma_f16 v175, v73, v99, v183
	v_pk_fma_f16 v176, v73, v172, v184
	v_pk_fma_f16 v61, v73, v100, v61
	v_pk_fma_f16 v73, v74, v171, v185
	v_pk_fma_f16 v77, v74, v99, v77
	v_pk_fma_f16 v177, v74, v172, v186
	v_pk_fma_f16 v62, v74, v100, v62
	v_pk_fma_f16 v5, v75, v171, v5
	v_pk_fma_f16 v6, v75, v99, v6
	v_pk_fma_f16 v57, v75, v172, v57
	v_pk_fma_f16 v58, v75, v100, v58
	v_pk_fma_f16 v7, v76, v99, v7
	v_mul_u32_u24_sdwa v74, v101, v46 dst_sel:DWORD dst_unused:UNUSED_PAD src0_sel:WORD_0 src1_sel:DWORD
	v_mul_u32_u24_sdwa v75, v101, v46 dst_sel:DWORD dst_unused:UNUSED_PAD src0_sel:WORD_1 src1_sel:DWORD
	v_mul_u32_u24_sdwa v99, v102, v46 dst_sel:DWORD dst_unused:UNUSED_PAD src0_sel:WORD_0 src1_sel:DWORD
	v_mul_u32_u24_sdwa v101, v102, v46 dst_sel:DWORD dst_unused:UNUSED_PAD src0_sel:WORD_1 src1_sel:DWORD
	v_pk_fma_f16 v59, v76, v171, v59
	v_pk_fma_f16 v8, v76, v100, v8
	;; [unrolled: 1-line block ×13, first 2 shown]
	v_mul_u32_u24_sdwa v88, v104, v46 dst_sel:DWORD dst_unused:UNUSED_PAD src0_sel:WORD_1 src1_sel:DWORD
	v_pk_fma_f16 v63, v76, v172, v63
	v_pk_fma_f16 v60, v82, v74, v60
	;; [unrolled: 1-line block ×17, first 2 shown]
	v_mul_u32_u24_sdwa v74, v103, v46 dst_sel:DWORD dst_unused:UNUSED_PAD src0_sel:WORD_0 src1_sel:DWORD
	v_mul_u32_u24_sdwa v75, v103, v46 dst_sel:DWORD dst_unused:UNUSED_PAD src0_sel:WORD_1 src1_sel:DWORD
	v_pk_fma_f16 v8, v90, v101, v8
	v_pk_fma_f16 v53, v91, v88, v53
	;; [unrolled: 1-line block ×5, first 2 shown]
	v_mul_u32_u24_sdwa v89, v106, v46 dst_sel:DWORD dst_unused:UNUSED_PAD src0_sel:WORD_1 src1_sel:DWORD
	v_pk_fma_f16 v76, v82, v99, v173
	v_pk_fma_f16 v82, v84, v99, v174
	v_pk_fma_f16 v84, v87, v99, v176
	v_pk_fma_f16 v63, v90, v99, v63
	v_mul_u32_u24_sdwa v87, v104, v46 dst_sel:DWORD dst_unused:UNUSED_PAD src0_sel:WORD_0 src1_sel:DWORD
	v_pk_fma_f16 v60, v91, v74, v60
	v_pk_fma_f16 v64, v91, v75, v64
	v_pk_fma_f16 v65, v92, v74, v65
	v_pk_fma_f16 v70, v92, v75, v70
	v_pk_fma_f16 v66, v93, v74, v66
	v_pk_fma_f16 v78, v93, v75, v78
	v_pk_fma_f16 v67, v94, v74, v67
	v_pk_fma_f16 v69, v94, v75, v69
	v_pk_fma_f16 v68, v95, v74, v68
	v_pk_fma_f16 v83, v95, v75, v83
	v_pk_fma_f16 v61, v95, v88, v61
	v_pk_fma_f16 v73, v96, v74, v73
	v_pk_fma_f16 v77, v96, v75, v77
	v_pk_fma_f16 v62, v96, v88, v62
	v_pk_fma_f16 v5, v97, v74, v5
	v_pk_fma_f16 v6, v97, v75, v6
	v_pk_fma_f16 v58, v97, v88, v58
	v_pk_fma_f16 v59, v98, v74, v59
	v_pk_fma_f16 v7, v98, v75, v7
	v_mul_u32_u24_sdwa v74, v105, v46 dst_sel:DWORD dst_unused:UNUSED_PAD src0_sel:WORD_0 src1_sel:DWORD
	v_mul_u32_u24_sdwa v75, v105, v46 dst_sel:DWORD dst_unused:UNUSED_PAD src0_sel:WORD_1 src1_sel:DWORD
	v_pk_fma_f16 v8, v98, v88, v8
	v_pk_fma_f16 v53, v107, v89, v53
	v_pk_fma_f16 v54, v108, v89, v54
	v_pk_fma_f16 v55, v109, v89, v55
	v_pk_fma_f16 v56, v110, v89, v56
	v_mul_u32_u24_sdwa v88, v140, v46 dst_sel:DWORD dst_unused:UNUSED_PAD src0_sel:WORD_1 src1_sel:DWORD
	v_pk_fma_f16 v76, v91, v87, v76
	v_pk_fma_f16 v71, v92, v87, v71
	v_pk_fma_f16 v82, v93, v87, v82
	v_pk_fma_f16 v79, v94, v87, v79
	v_pk_fma_f16 v84, v95, v87, v84
	v_pk_fma_f16 v85, v96, v87, v85
	v_pk_fma_f16 v57, v97, v87, v57
	v_pk_fma_f16 v63, v98, v87, v63
	v_mul_u32_u24_sdwa v87, v106, v46 dst_sel:DWORD dst_unused:UNUSED_PAD src0_sel:WORD_0 src1_sel:DWORD
	v_pk_fma_f16 v60, v107, v74, v60
	v_pk_fma_f16 v64, v107, v75, v64
	v_pk_fma_f16 v65, v108, v74, v65
	v_pk_fma_f16 v70, v108, v75, v70
	v_pk_fma_f16 v66, v109, v74, v66
	v_pk_fma_f16 v78, v109, v75, v78
	v_pk_fma_f16 v67, v110, v74, v67
	v_pk_fma_f16 v69, v110, v75, v69
	v_pk_fma_f16 v68, v111, v74, v68
	v_pk_fma_f16 v83, v111, v75, v83
	v_pk_fma_f16 v61, v111, v89, v61
	v_pk_fma_f16 v73, v112, v74, v73
	v_pk_fma_f16 v77, v112, v75, v77
	v_pk_fma_f16 v62, v112, v89, v62
	v_pk_fma_f16 v5, v113, v74, v5
	v_pk_fma_f16 v6, v113, v75, v6
	v_pk_fma_f16 v58, v113, v89, v58
	v_pk_fma_f16 v59, v114, v74, v59
	v_pk_fma_f16 v7, v114, v75, v7
	v_mul_u32_u24_sdwa v74, v139, v46 dst_sel:DWORD dst_unused:UNUSED_PAD src0_sel:WORD_0 src1_sel:DWORD
	v_mul_u32_u24_sdwa v75, v139, v46 dst_sel:DWORD dst_unused:UNUSED_PAD src0_sel:WORD_1 src1_sel:DWORD
	v_pk_fma_f16 v8, v114, v89, v8
	v_pk_fma_f16 v53, v115, v88, v53
	v_pk_fma_f16 v54, v116, v88, v54
	v_pk_fma_f16 v55, v117, v88, v55
	v_pk_fma_f16 v56, v118, v88, v56
	v_mul_u32_u24_sdwa v89, v142, v46 dst_sel:DWORD dst_unused:UNUSED_PAD src0_sel:WORD_1 src1_sel:DWORD
	v_pk_fma_f16 v76, v107, v87, v76
	v_pk_fma_f16 v71, v108, v87, v71
	v_pk_fma_f16 v82, v109, v87, v82
	v_pk_fma_f16 v79, v110, v87, v79
	v_pk_fma_f16 v84, v111, v87, v84
	v_pk_fma_f16 v85, v112, v87, v85
	v_pk_fma_f16 v57, v113, v87, v57
	v_pk_fma_f16 v63, v114, v87, v63
	v_mul_u32_u24_sdwa v87, v140, v46 dst_sel:DWORD dst_unused:UNUSED_PAD src0_sel:WORD_0 src1_sel:DWORD
	v_pk_fma_f16 v60, v115, v74, v60
	v_pk_fma_f16 v64, v115, v75, v64
	v_pk_fma_f16 v65, v116, v74, v65
	v_pk_fma_f16 v70, v116, v75, v70
	v_pk_fma_f16 v66, v117, v74, v66
	v_pk_fma_f16 v78, v117, v75, v78
	v_pk_fma_f16 v67, v118, v74, v67
	v_pk_fma_f16 v69, v118, v75, v69
	v_pk_fma_f16 v68, v119, v74, v68
	v_pk_fma_f16 v83, v119, v75, v83
	v_pk_fma_f16 v61, v119, v88, v61
	v_pk_fma_f16 v73, v120, v74, v73
	v_pk_fma_f16 v77, v120, v75, v77
	v_pk_fma_f16 v62, v120, v88, v62
	v_pk_fma_f16 v5, v121, v74, v5
	v_pk_fma_f16 v6, v121, v75, v6
	v_pk_fma_f16 v58, v121, v88, v58
	v_pk_fma_f16 v59, v122, v74, v59
	v_pk_fma_f16 v7, v122, v75, v7
	v_mul_u32_u24_sdwa v74, v141, v46 dst_sel:DWORD dst_unused:UNUSED_PAD src0_sel:WORD_0 src1_sel:DWORD
	v_mul_u32_u24_sdwa v75, v141, v46 dst_sel:DWORD dst_unused:UNUSED_PAD src0_sel:WORD_1 src1_sel:DWORD
	v_pk_fma_f16 v8, v122, v88, v8
	v_pk_fma_f16 v53, v123, v89, v53
	v_pk_fma_f16 v54, v124, v89, v54
	v_pk_fma_f16 v55, v125, v89, v55
	v_pk_fma_f16 v56, v126, v89, v56
	v_mul_u32_u24_sdwa v88, v144, v46 dst_sel:DWORD dst_unused:UNUSED_PAD src0_sel:WORD_1 src1_sel:DWORD
	v_pk_fma_f16 v76, v115, v87, v76
	v_pk_fma_f16 v71, v116, v87, v71
	v_pk_fma_f16 v82, v117, v87, v82
	v_pk_fma_f16 v79, v118, v87, v79
	v_pk_fma_f16 v84, v119, v87, v84
	v_pk_fma_f16 v85, v120, v87, v85
	;; [unrolled: 1-line block ×4, first 2 shown]
	v_mul_u32_u24_sdwa v87, v142, v46 dst_sel:DWORD dst_unused:UNUSED_PAD src0_sel:WORD_0 src1_sel:DWORD
	v_pk_fma_f16 v60, v123, v74, v60
	v_pk_fma_f16 v64, v123, v75, v64
	v_pk_fma_f16 v65, v124, v74, v65
	v_pk_fma_f16 v70, v124, v75, v70
	v_pk_fma_f16 v66, v125, v74, v66
	v_pk_fma_f16 v78, v125, v75, v78
	v_pk_fma_f16 v67, v126, v74, v67
	v_pk_fma_f16 v69, v126, v75, v69
	v_pk_fma_f16 v68, v127, v74, v68
	v_pk_fma_f16 v83, v127, v75, v83
	v_pk_fma_f16 v73, v128, v74, v73
	v_pk_fma_f16 v77, v128, v75, v77
	v_pk_fma_f16 v5, v129, v74, v5
	v_pk_fma_f16 v6, v129, v75, v6
	v_pk_fma_f16 v59, v130, v74, v59
	v_pk_fma_f16 v7, v130, v75, v7
	v_mul_u32_u24_sdwa v74, v143, v46 dst_sel:DWORD dst_unused:UNUSED_PAD src0_sel:WORD_0 src1_sel:DWORD
	v_mul_u32_u24_sdwa v75, v143, v46 dst_sel:DWORD dst_unused:UNUSED_PAD src0_sel:WORD_1 src1_sel:DWORD
	v_pk_fma_f16 v53, v131, v88, v53
	v_pk_fma_f16 v54, v132, v88, v54
	;; [unrolled: 1-line block ×4, first 2 shown]
	v_mul_u32_u24_sdwa v92, v146, v46 dst_sel:DWORD dst_unused:UNUSED_PAD src0_sel:WORD_1 src1_sel:DWORD
	v_pk_fma_f16 v76, v123, v87, v76
	v_pk_fma_f16 v71, v124, v87, v71
	;; [unrolled: 1-line block ×11, first 2 shown]
	v_mul_u32_u24_sdwa v87, v144, v46 dst_sel:DWORD dst_unused:UNUSED_PAD src0_sel:WORD_0 src1_sel:DWORD
	v_pk_fma_f16 v8, v130, v89, v8
	v_pk_fma_f16 v60, v131, v74, v60
	;; [unrolled: 1-line block ×10, first 2 shown]
	v_mul_u32_u24_sdwa v75, v145, v46 dst_sel:DWORD dst_unused:UNUSED_PAD src0_sel:WORD_0 src1_sel:DWORD
	v_pk_fma_f16 v95, v147, v92, v53
	v_pk_fma_f16 v97, v148, v92, v54
	;; [unrolled: 1-line block ×4, first 2 shown]
	s_waitcnt vmcnt(3)
	ds_write_b128 v41, v[155:158]
	s_waitcnt vmcnt(2)
	ds_write_b128 v42, v[159:162]
	;; [unrolled: 2-line block ×4, first 2 shown]
	s_waitcnt lgkmcnt(0)
	s_barrier
	buffer_gl0_inv
	ds_read_b128 v[53:56], v40 offset:256
	v_pk_fma_f16 v65, v132, v74, v65
	v_pk_fma_f16 v66, v133, v74, v66
	;; [unrolled: 1-line block ×13, first 2 shown]
	ds_read2_b64 v[57:60], v81 offset1:32
	v_pk_fma_f16 v76, v131, v87, v76
	v_pk_fma_f16 v71, v132, v87, v71
	;; [unrolled: 1-line block ×7, first 2 shown]
	v_mul_u32_u24_sdwa v87, v145, v46 dst_sel:DWORD dst_unused:UNUSED_PAD src0_sel:WORD_1 src1_sel:DWORD
	v_mul_u32_u24_sdwa v91, v146, v46 dst_sel:DWORD dst_unused:UNUSED_PAD src0_sel:WORD_0 src1_sel:DWORD
	v_pk_fma_f16 v96, v148, v75, v65
	v_pk_fma_f16 v98, v149, v75, v66
	;; [unrolled: 1-line block ×11, first 2 shown]
	s_waitcnt lgkmcnt(1)
	v_mul_u32_u24_sdwa v109, v53, v46 dst_sel:DWORD dst_unused:UNUSED_PAD src0_sel:WORD_0 src1_sel:DWORD
	v_mul_u32_u24_sdwa v53, v53, v46 dst_sel:DWORD dst_unused:UNUSED_PAD src0_sel:WORD_1 src1_sel:DWORD
	v_mul_u32_u24_sdwa v110, v54, v46 dst_sel:DWORD dst_unused:UNUSED_PAD src0_sel:WORD_0 src1_sel:DWORD
	v_mul_u32_u24_sdwa v54, v54, v46 dst_sel:DWORD dst_unused:UNUSED_PAD src0_sel:WORD_1 src1_sel:DWORD
	v_pk_fma_f16 v102, v151, v75, v68
	v_pk_fma_f16 v84, v151, v91, v84
	v_pk_fma_f16 v103, v151, v92, v61
	v_pk_fma_f16 v85, v152, v91, v85
	v_pk_fma_f16 v105, v152, v92, v62
	v_pk_fma_f16 v89, v153, v91, v89
	v_pk_fma_f16 v91, v154, v91, v63
	ds_read2_b64 v[61:64], v81 offset0:64 offset1:96
	ds_read_b128 v[65:68], v40 offset:272
	v_pk_fma_f16 v83, v151, v87, v83
	v_pk_fma_f16 v104, v152, v75, v73
	;; [unrolled: 1-line block ×9, first 2 shown]
	ds_read_b128 v[73:76], v40 offset:288
	ds_read_b128 v[5:8], v40 offset:304
	s_waitcnt lgkmcnt(4)
	v_pk_fma_f16 v88, v57, v109, v88
	v_pk_fma_f16 v93, v57, v53, v93
	;; [unrolled: 1-line block ×16, first 2 shown]
	ds_read2_b64 v[57:60], v81 offset0:128 offset1:160
	s_waitcnt lgkmcnt(4)
	v_pk_fma_f16 v102, v61, v109, v102
	v_pk_fma_f16 v112, v61, v53, v83
	;; [unrolled: 1-line block ×14, first 2 shown]
	ds_read2_b64 v[82:85], v81 offset0:192 offset1:224
	v_mul_u32_u24_sdwa v107, v55, v46 dst_sel:DWORD dst_unused:UNUSED_PAD src0_sel:WORD_0 src1_sel:DWORD
	v_mul_u32_u24_sdwa v108, v55, v46 dst_sel:DWORD dst_unused:UNUSED_PAD src0_sel:WORD_1 src1_sel:DWORD
	v_mul_u32_u24_sdwa v109, v56, v46 dst_sel:DWORD dst_unused:UNUSED_PAD src0_sel:WORD_0 src1_sel:DWORD
	v_mul_u32_u24_sdwa v110, v56, v46 dst_sel:DWORD dst_unused:UNUSED_PAD src0_sel:WORD_1 src1_sel:DWORD
	v_pk_fma_f16 v87, v64, v53, v87
	v_pk_fma_f16 v64, v64, v54, v92
	s_waitcnt lgkmcnt(1)
	v_pk_fma_f16 v88, v57, v107, v88
	v_pk_fma_f16 v92, v57, v108, v93
	;; [unrolled: 1-line block ×16, first 2 shown]
	ds_read2_b64 v[53:56], v80 offset1:32
	ds_read2_b64 v[57:60], v80 offset0:64 offset1:96
	s_waitcnt lgkmcnt(2)
	v_pk_fma_f16 v102, v82, v107, v102
	v_pk_fma_f16 v111, v82, v108, v112
	;; [unrolled: 1-line block ×14, first 2 shown]
	v_mul_u32_u24_sdwa v91, v65, v46 dst_sel:DWORD dst_unused:UNUSED_PAD src0_sel:WORD_0 src1_sel:DWORD
	v_mul_u32_u24_sdwa v65, v65, v46 dst_sel:DWORD dst_unused:UNUSED_PAD src0_sel:WORD_1 src1_sel:DWORD
	v_mul_u32_u24_sdwa v105, v66, v46 dst_sel:DWORD dst_unused:UNUSED_PAD src0_sel:WORD_0 src1_sel:DWORD
	v_mul_u32_u24_sdwa v66, v66, v46 dst_sel:DWORD dst_unused:UNUSED_PAD src0_sel:WORD_1 src1_sel:DWORD
	v_pk_fma_f16 v87, v85, v108, v87
	v_pk_fma_f16 v85, v85, v110, v64
	s_waitcnt lgkmcnt(1)
	v_pk_fma_f16 v88, v53, v91, v88
	v_pk_fma_f16 v92, v53, v65, v92
	;; [unrolled: 1-line block ×16, first 2 shown]
	s_waitcnt lgkmcnt(0)
	v_pk_fma_f16 v102, v57, v91, v102
	v_pk_fma_f16 v106, v57, v65, v111
	ds_read2_b64 v[53:56], v80 offset0:128 offset1:160
	v_pk_fma_f16 v107, v57, v105, v112
	v_pk_fma_f16 v57, v57, v66, v61
	;; [unrolled: 1-line block ×10, first 2 shown]
	ds_read2_b64 v[61:64], v80 offset0:192 offset1:224
	v_pk_fma_f16 v84, v60, v91, v84
	v_pk_fma_f16 v65, v60, v65, v87
	;; [unrolled: 1-line block ×3, first 2 shown]
	v_mul_u32_u24_sdwa v90, v67, v46 dst_sel:DWORD dst_unused:UNUSED_PAD src0_sel:WORD_0 src1_sel:DWORD
	v_mul_u32_u24_sdwa v67, v67, v46 dst_sel:DWORD dst_unused:UNUSED_PAD src0_sel:WORD_1 src1_sel:DWORD
	v_mul_u32_u24_sdwa v91, v68, v46 dst_sel:DWORD dst_unused:UNUSED_PAD src0_sel:WORD_0 src1_sel:DWORD
	v_mul_u32_u24_sdwa v68, v68, v46 dst_sel:DWORD dst_unused:UNUSED_PAD src0_sel:WORD_1 src1_sel:DWORD
	v_pk_fma_f16 v66, v60, v66, v85
	s_waitcnt lgkmcnt(1)
	v_pk_fma_f16 v85, v53, v90, v88
	v_pk_fma_f16 v88, v53, v67, v92
	;; [unrolled: 1-line block ×16, first 2 shown]
	s_waitcnt lgkmcnt(0)
	v_pk_fma_f16 v101, v61, v90, v102
	v_pk_fma_f16 v102, v61, v67, v106
	ds_read2_b64 v[53:56], v51 offset1:32
	v_pk_fma_f16 v105, v61, v91, v107
	v_pk_fma_f16 v61, v61, v68, v57
	;; [unrolled: 1-line block ×10, first 2 shown]
	ds_read2_b64 v[57:60], v51 offset0:64 offset1:96
	v_pk_fma_f16 v84, v64, v90, v84
	v_pk_fma_f16 v65, v64, v67, v65
	v_pk_fma_f16 v67, v64, v91, v87
	v_mul_u32_u24_sdwa v87, v73, v46 dst_sel:DWORD dst_unused:UNUSED_PAD src0_sel:WORD_0 src1_sel:DWORD
	v_mul_u32_u24_sdwa v73, v73, v46 dst_sel:DWORD dst_unused:UNUSED_PAD src0_sel:WORD_1 src1_sel:DWORD
	v_mul_u32_u24_sdwa v90, v74, v46 dst_sel:DWORD dst_unused:UNUSED_PAD src0_sel:WORD_0 src1_sel:DWORD
	v_mul_u32_u24_sdwa v74, v74, v46 dst_sel:DWORD dst_unused:UNUSED_PAD src0_sel:WORD_1 src1_sel:DWORD
	v_pk_fma_f16 v66, v64, v68, v66
	s_waitcnt lgkmcnt(1)
	v_pk_fma_f16 v68, v53, v87, v85
	v_pk_fma_f16 v85, v53, v73, v88
	;; [unrolled: 1-line block ×16, first 2 shown]
	s_waitcnt lgkmcnt(0)
	v_pk_fma_f16 v99, v57, v87, v101
	v_pk_fma_f16 v100, v57, v73, v102
	ds_read2_b64 v[53:56], v51 offset0:128 offset1:160
	v_pk_fma_f16 v101, v57, v90, v105
	v_pk_fma_f16 v57, v57, v74, v61
	;; [unrolled: 1-line block ×10, first 2 shown]
	ds_read2_b64 v[61:64], v51 offset0:192 offset1:224
	v_pk_fma_f16 v84, v60, v87, v84
	v_pk_fma_f16 v65, v60, v73, v65
	v_mul_u32_u24_sdwa v73, v75, v46 dst_sel:DWORD dst_unused:UNUSED_PAD src0_sel:WORD_0 src1_sel:DWORD
	v_mul_u32_u24_sdwa v75, v75, v46 dst_sel:DWORD dst_unused:UNUSED_PAD src0_sel:WORD_1 src1_sel:DWORD
	v_mul_u32_u24_sdwa v87, v76, v46 dst_sel:DWORD dst_unused:UNUSED_PAD src0_sel:WORD_0 src1_sel:DWORD
	v_mul_u32_u24_sdwa v76, v76, v46 dst_sel:DWORD dst_unused:UNUSED_PAD src0_sel:WORD_1 src1_sel:DWORD
	v_pk_fma_f16 v67, v60, v90, v67
	v_pk_fma_f16 v66, v60, v74, v66
	s_waitcnt lgkmcnt(1)
	v_pk_fma_f16 v74, v53, v75, v85
	v_pk_fma_f16 v85, v53, v87, v88
	;; [unrolled: 1-line block ×11, first 2 shown]
	s_waitcnt lgkmcnt(0)
	v_pk_fma_f16 v97, v61, v73, v99
	v_pk_fma_f16 v98, v61, v75, v100
	;; [unrolled: 1-line block ×9, first 2 shown]
	ds_read2_b64 v[57:60], v52 offset0:64 offset1:96
	v_pk_fma_f16 v70, v54, v75, v70
	v_pk_fma_f16 v71, v54, v87, v71
	;; [unrolled: 1-line block ×5, first 2 shown]
	ds_read2_b64 v[53:56], v52 offset1:32
	s_or_b32 s0, s8, 48
	v_mul_u32_u24_sdwa v178, v5, v46 dst_sel:DWORD dst_unused:UNUSED_PAD src0_sel:WORD_0 src1_sel:DWORD
	s_mul_hi_i32 s19, s0, s9
	s_mul_i32 s18, s0, s9
	v_mul_u32_u24_sdwa v179, v5, v46 dst_sel:DWORD dst_unused:UNUSED_PAD src0_sel:WORD_1 src1_sel:DWORD
	s_lshl_b64 s[18:19], s[18:19], 2
	v_mul_u32_u24_sdwa v180, v6, v46 dst_sel:DWORD dst_unused:UNUSED_PAD src0_sel:WORD_0 src1_sel:DWORD
	v_mul_u32_u24_sdwa v181, v6, v46 dst_sel:DWORD dst_unused:UNUSED_PAD src0_sel:WORD_1 src1_sel:DWORD
	s_add_u32 s0, s12, s18
	s_addc_u32 s15, s13, s19
	v_add_co_u32 v5, vcc_lo, s0, v27
	v_add_co_ci_u32_e64 v6, null, s15, v28, vcc_lo
	s_waitcnt lgkmcnt(1)
	v_pk_fma_f16 v194, v57, v178, v97
	v_pk_fma_f16 v195, v57, v179, v98
	;; [unrolled: 1-line block ×4, first 2 shown]
	v_add_co_u32 v57, vcc_lo, s0, v29
	v_pk_fma_f16 v198, v58, v178, v82
	v_pk_fma_f16 v77, v58, v179, v77
	;; [unrolled: 1-line block ×4, first 2 shown]
	v_add_co_ci_u32_e64 v58, null, s15, v30, vcc_lo
	v_add_co_u32 v5, vcc_lo, v5, v86
	v_add_co_ci_u32_e64 v6, null, 0, v6, vcc_lo
	v_add_co_u32 v57, vcc_lo, v57, v86
	v_add_co_ci_u32_e64 v58, null, 0, v58, vcc_lo
	v_pk_fma_f16 v171, v63, v73, v83
	v_pk_fma_f16 v172, v63, v75, v103
	;; [unrolled: 1-line block ×7, first 2 shown]
	s_waitcnt lgkmcnt(0)
	v_pk_fma_f16 v183, v53, v178, v68
	v_pk_fma_f16 v184, v53, v179, v74
	;; [unrolled: 1-line block ×16, first 2 shown]
	ds_read2_b64 v[53:56], v52 offset0:128 offset1:160
	ds_read2_b64 v[61:64], v52 offset0:192 offset1:224
	ds_read2_b64 v[65:68], v50 offset1:32
	ds_read2_b64 v[73:76], v50 offset0:64 offset1:96
	ds_read2_b64 v[82:85], v50 offset0:128 offset1:160
	;; [unrolled: 1-line block ×3, first 2 shown]
	ds_read2_b64 v[91:94], v49 offset1:32
	ds_read2_b64 v[95:98], v49 offset0:64 offset1:96
	ds_read_b128 v[99:102], v40 offset:320
	ds_read_b128 v[103:106], v40 offset:336
	ds_read2_b64 v[107:110], v49 offset0:128 offset1:160
	ds_read2_b64 v[111:114], v49 offset0:192 offset1:224
	ds_read2_b64 v[115:118], v48 offset1:32
	ds_read2_b64 v[119:122], v48 offset0:64 offset1:96
	ds_read2_b64 v[123:126], v48 offset0:128 offset1:160
	;; [unrolled: 1-line block ×3, first 2 shown]
	ds_read2_b64 v[131:134], v47 offset1:32
	ds_read2_b64 v[135:138], v47 offset0:64 offset1:96
	ds_read_b128 v[139:142], v40 offset:352
	ds_read_b128 v[143:146], v40 offset:368
	ds_read2_b64 v[147:150], v47 offset0:128 offset1:160
	ds_read2_b64 v[151:154], v47 offset0:192 offset1:224
	s_waitcnt lgkmcnt(0)
	s_barrier
	buffer_gl0_inv
	s_clause 0x3
	global_load_dwordx4 v[155:158], v[5:6], off
	global_load_dwordx4 v[159:162], v[5:6], off offset:512
	global_load_dwordx4 v[163:166], v[57:58], off
	global_load_dwordx4 v[167:170], v[57:58], off offset:512
	v_pk_fma_f16 v5, v59, v178, v171
	v_pk_fma_f16 v6, v59, v179, v172
	;; [unrolled: 1-line block ×6, first 2 shown]
	v_mul_u32_u24_sdwa v173, v7, v46 dst_sel:DWORD dst_unused:UNUSED_PAD src0_sel:WORD_0 src1_sel:DWORD
	v_mul_u32_u24_sdwa v7, v7, v46 dst_sel:DWORD dst_unused:UNUSED_PAD src0_sel:WORD_1 src1_sel:DWORD
	v_mul_u32_u24_sdwa v174, v8, v46 dst_sel:DWORD dst_unused:UNUSED_PAD src0_sel:WORD_0 src1_sel:DWORD
	v_mul_u32_u24_sdwa v8, v8, v46 dst_sel:DWORD dst_unused:UNUSED_PAD src0_sel:WORD_1 src1_sel:DWORD
	v_pk_fma_f16 v59, v60, v178, v175
	v_pk_fma_f16 v60, v60, v181, v182
	v_pk_fma_f16 v175, v53, v173, v183
	v_pk_fma_f16 v176, v53, v7, v184
	v_pk_fma_f16 v177, v53, v174, v185
	v_pk_fma_f16 v53, v53, v8, v186
	v_pk_fma_f16 v178, v54, v173, v187
	v_pk_fma_f16 v70, v54, v7, v70
	v_pk_fma_f16 v71, v54, v174, v71
	v_pk_fma_f16 v54, v54, v8, v188
	v_pk_fma_f16 v179, v55, v173, v189
	v_pk_fma_f16 v78, v55, v7, v78
	v_pk_fma_f16 v180, v55, v174, v190
	v_pk_fma_f16 v55, v55, v8, v191
	v_pk_fma_f16 v181, v56, v173, v192
	v_pk_fma_f16 v69, v56, v7, v69
	v_pk_fma_f16 v79, v56, v174, v79
	v_pk_fma_f16 v56, v56, v8, v193
	v_pk_fma_f16 v182, v61, v173, v194
	v_pk_fma_f16 v183, v61, v7, v195
	v_pk_fma_f16 v184, v61, v174, v196
	v_pk_fma_f16 v61, v61, v8, v197
	v_pk_fma_f16 v185, v62, v173, v198
	v_pk_fma_f16 v77, v62, v7, v77
	v_pk_fma_f16 v186, v62, v174, v199
	v_pk_fma_f16 v62, v62, v8, v200
	v_pk_fma_f16 v5, v63, v173, v5
	v_pk_fma_f16 v6, v63, v7, v6
	v_pk_fma_f16 v57, v63, v174, v57
	v_pk_fma_f16 v58, v63, v8, v58
	v_pk_fma_f16 v7, v64, v7, v171
	v_pk_fma_f16 v63, v64, v174, v172
	v_mul_u32_u24_sdwa v171, v99, v46 dst_sel:DWORD dst_unused:UNUSED_PAD src0_sel:WORD_0 src1_sel:DWORD
	v_mul_u32_u24_sdwa v99, v99, v46 dst_sel:DWORD dst_unused:UNUSED_PAD src0_sel:WORD_1 src1_sel:DWORD
	v_mul_u32_u24_sdwa v172, v100, v46 dst_sel:DWORD dst_unused:UNUSED_PAD src0_sel:WORD_0 src1_sel:DWORD
	v_mul_u32_u24_sdwa v100, v100, v46 dst_sel:DWORD dst_unused:UNUSED_PAD src0_sel:WORD_1 src1_sel:DWORD
	v_pk_fma_f16 v59, v64, v173, v59
	v_pk_fma_f16 v8, v64, v8, v60
	;; [unrolled: 1-line block ×31, first 2 shown]
	v_mul_u32_u24_sdwa v74, v101, v46 dst_sel:DWORD dst_unused:UNUSED_PAD src0_sel:WORD_0 src1_sel:DWORD
	v_mul_u32_u24_sdwa v75, v101, v46 dst_sel:DWORD dst_unused:UNUSED_PAD src0_sel:WORD_1 src1_sel:DWORD
	v_mul_u32_u24_sdwa v99, v102, v46 dst_sel:DWORD dst_unused:UNUSED_PAD src0_sel:WORD_0 src1_sel:DWORD
	v_mul_u32_u24_sdwa v101, v102, v46 dst_sel:DWORD dst_unused:UNUSED_PAD src0_sel:WORD_1 src1_sel:DWORD
	v_pk_fma_f16 v59, v76, v171, v59
	v_pk_fma_f16 v8, v76, v100, v8
	;; [unrolled: 1-line block ×13, first 2 shown]
	v_mul_u32_u24_sdwa v88, v104, v46 dst_sel:DWORD dst_unused:UNUSED_PAD src0_sel:WORD_1 src1_sel:DWORD
	v_pk_fma_f16 v63, v76, v172, v63
	v_pk_fma_f16 v60, v82, v74, v60
	;; [unrolled: 1-line block ×17, first 2 shown]
	v_mul_u32_u24_sdwa v74, v103, v46 dst_sel:DWORD dst_unused:UNUSED_PAD src0_sel:WORD_0 src1_sel:DWORD
	v_mul_u32_u24_sdwa v75, v103, v46 dst_sel:DWORD dst_unused:UNUSED_PAD src0_sel:WORD_1 src1_sel:DWORD
	v_pk_fma_f16 v8, v90, v101, v8
	v_pk_fma_f16 v53, v91, v88, v53
	;; [unrolled: 1-line block ×5, first 2 shown]
	v_mul_u32_u24_sdwa v89, v106, v46 dst_sel:DWORD dst_unused:UNUSED_PAD src0_sel:WORD_1 src1_sel:DWORD
	v_pk_fma_f16 v76, v82, v99, v173
	v_pk_fma_f16 v82, v84, v99, v174
	v_pk_fma_f16 v84, v87, v99, v176
	v_pk_fma_f16 v63, v90, v99, v63
	v_mul_u32_u24_sdwa v87, v104, v46 dst_sel:DWORD dst_unused:UNUSED_PAD src0_sel:WORD_0 src1_sel:DWORD
	v_pk_fma_f16 v60, v91, v74, v60
	v_pk_fma_f16 v64, v91, v75, v64
	v_pk_fma_f16 v65, v92, v74, v65
	v_pk_fma_f16 v70, v92, v75, v70
	v_pk_fma_f16 v66, v93, v74, v66
	v_pk_fma_f16 v78, v93, v75, v78
	v_pk_fma_f16 v67, v94, v74, v67
	v_pk_fma_f16 v69, v94, v75, v69
	v_pk_fma_f16 v68, v95, v74, v68
	v_pk_fma_f16 v83, v95, v75, v83
	v_pk_fma_f16 v61, v95, v88, v61
	v_pk_fma_f16 v73, v96, v74, v73
	v_pk_fma_f16 v77, v96, v75, v77
	v_pk_fma_f16 v62, v96, v88, v62
	v_pk_fma_f16 v5, v97, v74, v5
	v_pk_fma_f16 v6, v97, v75, v6
	v_pk_fma_f16 v58, v97, v88, v58
	v_pk_fma_f16 v59, v98, v74, v59
	v_pk_fma_f16 v7, v98, v75, v7
	v_mul_u32_u24_sdwa v74, v105, v46 dst_sel:DWORD dst_unused:UNUSED_PAD src0_sel:WORD_0 src1_sel:DWORD
	v_mul_u32_u24_sdwa v75, v105, v46 dst_sel:DWORD dst_unused:UNUSED_PAD src0_sel:WORD_1 src1_sel:DWORD
	v_pk_fma_f16 v8, v98, v88, v8
	v_pk_fma_f16 v53, v107, v89, v53
	v_pk_fma_f16 v54, v108, v89, v54
	v_pk_fma_f16 v55, v109, v89, v55
	v_pk_fma_f16 v56, v110, v89, v56
	v_mul_u32_u24_sdwa v88, v140, v46 dst_sel:DWORD dst_unused:UNUSED_PAD src0_sel:WORD_1 src1_sel:DWORD
	v_pk_fma_f16 v76, v91, v87, v76
	v_pk_fma_f16 v71, v92, v87, v71
	v_pk_fma_f16 v82, v93, v87, v82
	v_pk_fma_f16 v79, v94, v87, v79
	v_pk_fma_f16 v84, v95, v87, v84
	v_pk_fma_f16 v85, v96, v87, v85
	v_pk_fma_f16 v57, v97, v87, v57
	v_pk_fma_f16 v63, v98, v87, v63
	v_mul_u32_u24_sdwa v87, v106, v46 dst_sel:DWORD dst_unused:UNUSED_PAD src0_sel:WORD_0 src1_sel:DWORD
	v_pk_fma_f16 v60, v107, v74, v60
	v_pk_fma_f16 v64, v107, v75, v64
	v_pk_fma_f16 v65, v108, v74, v65
	v_pk_fma_f16 v70, v108, v75, v70
	v_pk_fma_f16 v66, v109, v74, v66
	v_pk_fma_f16 v78, v109, v75, v78
	v_pk_fma_f16 v67, v110, v74, v67
	v_pk_fma_f16 v69, v110, v75, v69
	v_pk_fma_f16 v68, v111, v74, v68
	v_pk_fma_f16 v83, v111, v75, v83
	v_pk_fma_f16 v61, v111, v89, v61
	v_pk_fma_f16 v73, v112, v74, v73
	v_pk_fma_f16 v77, v112, v75, v77
	v_pk_fma_f16 v62, v112, v89, v62
	v_pk_fma_f16 v5, v113, v74, v5
	v_pk_fma_f16 v6, v113, v75, v6
	v_pk_fma_f16 v58, v113, v89, v58
	v_pk_fma_f16 v59, v114, v74, v59
	v_pk_fma_f16 v7, v114, v75, v7
	v_mul_u32_u24_sdwa v74, v139, v46 dst_sel:DWORD dst_unused:UNUSED_PAD src0_sel:WORD_0 src1_sel:DWORD
	v_mul_u32_u24_sdwa v75, v139, v46 dst_sel:DWORD dst_unused:UNUSED_PAD src0_sel:WORD_1 src1_sel:DWORD
	v_pk_fma_f16 v8, v114, v89, v8
	v_pk_fma_f16 v53, v115, v88, v53
	v_pk_fma_f16 v54, v116, v88, v54
	v_pk_fma_f16 v55, v117, v88, v55
	v_pk_fma_f16 v56, v118, v88, v56
	v_mul_u32_u24_sdwa v89, v142, v46 dst_sel:DWORD dst_unused:UNUSED_PAD src0_sel:WORD_1 src1_sel:DWORD
	v_pk_fma_f16 v76, v107, v87, v76
	v_pk_fma_f16 v71, v108, v87, v71
	v_pk_fma_f16 v82, v109, v87, v82
	v_pk_fma_f16 v79, v110, v87, v79
	;; [unrolled: 36-line block ×3, first 2 shown]
	v_pk_fma_f16 v84, v119, v87, v84
	v_pk_fma_f16 v85, v120, v87, v85
	;; [unrolled: 1-line block ×4, first 2 shown]
	v_mul_u32_u24_sdwa v87, v142, v46 dst_sel:DWORD dst_unused:UNUSED_PAD src0_sel:WORD_0 src1_sel:DWORD
	v_pk_fma_f16 v60, v123, v74, v60
	v_pk_fma_f16 v64, v123, v75, v64
	;; [unrolled: 1-line block ×16, first 2 shown]
	v_mul_u32_u24_sdwa v74, v143, v46 dst_sel:DWORD dst_unused:UNUSED_PAD src0_sel:WORD_0 src1_sel:DWORD
	v_mul_u32_u24_sdwa v75, v143, v46 dst_sel:DWORD dst_unused:UNUSED_PAD src0_sel:WORD_1 src1_sel:DWORD
	v_pk_fma_f16 v53, v131, v88, v53
	v_pk_fma_f16 v54, v132, v88, v54
	;; [unrolled: 1-line block ×4, first 2 shown]
	v_mul_u32_u24_sdwa v92, v146, v46 dst_sel:DWORD dst_unused:UNUSED_PAD src0_sel:WORD_1 src1_sel:DWORD
	v_pk_fma_f16 v76, v123, v87, v76
	v_pk_fma_f16 v71, v124, v87, v71
	;; [unrolled: 1-line block ×11, first 2 shown]
	v_mul_u32_u24_sdwa v87, v144, v46 dst_sel:DWORD dst_unused:UNUSED_PAD src0_sel:WORD_0 src1_sel:DWORD
	v_pk_fma_f16 v8, v130, v89, v8
	v_pk_fma_f16 v60, v131, v74, v60
	;; [unrolled: 1-line block ×10, first 2 shown]
	v_mul_u32_u24_sdwa v75, v145, v46 dst_sel:DWORD dst_unused:UNUSED_PAD src0_sel:WORD_0 src1_sel:DWORD
	v_pk_fma_f16 v95, v147, v92, v53
	v_pk_fma_f16 v97, v148, v92, v54
	v_pk_fma_f16 v99, v149, v92, v55
	v_pk_fma_f16 v101, v150, v92, v56
	s_waitcnt vmcnt(3)
	ds_write_b128 v41, v[155:158]
	s_waitcnt vmcnt(2)
	ds_write_b128 v42, v[159:162]
	;; [unrolled: 2-line block ×4, first 2 shown]
	s_waitcnt lgkmcnt(0)
	s_barrier
	buffer_gl0_inv
	ds_read_b128 v[53:56], v40 offset:384
	v_pk_fma_f16 v65, v132, v74, v65
	v_pk_fma_f16 v66, v133, v74, v66
	;; [unrolled: 1-line block ×13, first 2 shown]
	ds_read2_b64 v[57:60], v81 offset1:32
	v_pk_fma_f16 v76, v131, v87, v76
	v_pk_fma_f16 v71, v132, v87, v71
	;; [unrolled: 1-line block ×7, first 2 shown]
	v_mul_u32_u24_sdwa v87, v145, v46 dst_sel:DWORD dst_unused:UNUSED_PAD src0_sel:WORD_1 src1_sel:DWORD
	v_mul_u32_u24_sdwa v91, v146, v46 dst_sel:DWORD dst_unused:UNUSED_PAD src0_sel:WORD_0 src1_sel:DWORD
	v_pk_fma_f16 v96, v148, v75, v65
	v_pk_fma_f16 v98, v149, v75, v66
	;; [unrolled: 1-line block ×11, first 2 shown]
	s_waitcnt lgkmcnt(1)
	v_mul_u32_u24_sdwa v109, v53, v46 dst_sel:DWORD dst_unused:UNUSED_PAD src0_sel:WORD_0 src1_sel:DWORD
	v_mul_u32_u24_sdwa v53, v53, v46 dst_sel:DWORD dst_unused:UNUSED_PAD src0_sel:WORD_1 src1_sel:DWORD
	v_mul_u32_u24_sdwa v110, v54, v46 dst_sel:DWORD dst_unused:UNUSED_PAD src0_sel:WORD_0 src1_sel:DWORD
	v_mul_u32_u24_sdwa v54, v54, v46 dst_sel:DWORD dst_unused:UNUSED_PAD src0_sel:WORD_1 src1_sel:DWORD
	v_pk_fma_f16 v102, v151, v75, v68
	v_pk_fma_f16 v84, v151, v91, v84
	v_pk_fma_f16 v103, v151, v92, v61
	v_pk_fma_f16 v85, v152, v91, v85
	v_pk_fma_f16 v105, v152, v92, v62
	v_pk_fma_f16 v89, v153, v91, v89
	v_pk_fma_f16 v91, v154, v91, v63
	ds_read2_b64 v[61:64], v81 offset0:64 offset1:96
	ds_read_b128 v[65:68], v40 offset:400
	v_pk_fma_f16 v83, v151, v87, v83
	v_pk_fma_f16 v104, v152, v75, v73
	v_pk_fma_f16 v77, v152, v87, v77
	v_pk_fma_f16 v106, v153, v75, v5
	v_pk_fma_f16 v107, v153, v87, v6
	v_pk_fma_f16 v90, v153, v92, v90
	v_pk_fma_f16 v108, v154, v75, v74
	v_pk_fma_f16 v87, v154, v87, v7
	v_pk_fma_f16 v92, v154, v92, v8
	ds_read_b128 v[73:76], v40 offset:416
	ds_read_b128 v[5:8], v40 offset:432
	s_waitcnt lgkmcnt(4)
	v_pk_fma_f16 v88, v57, v109, v88
	v_pk_fma_f16 v93, v57, v53, v93
	;; [unrolled: 1-line block ×16, first 2 shown]
	ds_read2_b64 v[57:60], v81 offset0:128 offset1:160
	s_waitcnt lgkmcnt(4)
	v_pk_fma_f16 v102, v61, v109, v102
	v_pk_fma_f16 v112, v61, v53, v83
	;; [unrolled: 1-line block ×14, first 2 shown]
	ds_read2_b64 v[82:85], v81 offset0:192 offset1:224
	v_mul_u32_u24_sdwa v107, v55, v46 dst_sel:DWORD dst_unused:UNUSED_PAD src0_sel:WORD_0 src1_sel:DWORD
	v_mul_u32_u24_sdwa v108, v55, v46 dst_sel:DWORD dst_unused:UNUSED_PAD src0_sel:WORD_1 src1_sel:DWORD
	v_mul_u32_u24_sdwa v109, v56, v46 dst_sel:DWORD dst_unused:UNUSED_PAD src0_sel:WORD_0 src1_sel:DWORD
	v_mul_u32_u24_sdwa v110, v56, v46 dst_sel:DWORD dst_unused:UNUSED_PAD src0_sel:WORD_1 src1_sel:DWORD
	v_pk_fma_f16 v87, v64, v53, v87
	v_pk_fma_f16 v64, v64, v54, v92
	s_waitcnt lgkmcnt(1)
	v_pk_fma_f16 v88, v57, v107, v88
	v_pk_fma_f16 v92, v57, v108, v93
	;; [unrolled: 1-line block ×16, first 2 shown]
	ds_read2_b64 v[53:56], v80 offset1:32
	ds_read2_b64 v[57:60], v80 offset0:64 offset1:96
	s_waitcnt lgkmcnt(2)
	v_pk_fma_f16 v102, v82, v107, v102
	v_pk_fma_f16 v111, v82, v108, v112
	;; [unrolled: 1-line block ×14, first 2 shown]
	v_mul_u32_u24_sdwa v91, v65, v46 dst_sel:DWORD dst_unused:UNUSED_PAD src0_sel:WORD_0 src1_sel:DWORD
	v_mul_u32_u24_sdwa v65, v65, v46 dst_sel:DWORD dst_unused:UNUSED_PAD src0_sel:WORD_1 src1_sel:DWORD
	v_mul_u32_u24_sdwa v105, v66, v46 dst_sel:DWORD dst_unused:UNUSED_PAD src0_sel:WORD_0 src1_sel:DWORD
	v_mul_u32_u24_sdwa v66, v66, v46 dst_sel:DWORD dst_unused:UNUSED_PAD src0_sel:WORD_1 src1_sel:DWORD
	v_pk_fma_f16 v87, v85, v108, v87
	v_pk_fma_f16 v85, v85, v110, v64
	s_waitcnt lgkmcnt(1)
	v_pk_fma_f16 v88, v53, v91, v88
	v_pk_fma_f16 v92, v53, v65, v92
	;; [unrolled: 1-line block ×16, first 2 shown]
	s_waitcnt lgkmcnt(0)
	v_pk_fma_f16 v102, v57, v91, v102
	v_pk_fma_f16 v106, v57, v65, v111
	ds_read2_b64 v[53:56], v80 offset0:128 offset1:160
	v_pk_fma_f16 v107, v57, v105, v112
	v_pk_fma_f16 v57, v57, v66, v61
	;; [unrolled: 1-line block ×10, first 2 shown]
	ds_read2_b64 v[61:64], v80 offset0:192 offset1:224
	v_pk_fma_f16 v84, v60, v91, v84
	v_pk_fma_f16 v65, v60, v65, v87
	;; [unrolled: 1-line block ×3, first 2 shown]
	v_mul_u32_u24_sdwa v90, v67, v46 dst_sel:DWORD dst_unused:UNUSED_PAD src0_sel:WORD_0 src1_sel:DWORD
	v_mul_u32_u24_sdwa v67, v67, v46 dst_sel:DWORD dst_unused:UNUSED_PAD src0_sel:WORD_1 src1_sel:DWORD
	v_mul_u32_u24_sdwa v91, v68, v46 dst_sel:DWORD dst_unused:UNUSED_PAD src0_sel:WORD_0 src1_sel:DWORD
	v_mul_u32_u24_sdwa v68, v68, v46 dst_sel:DWORD dst_unused:UNUSED_PAD src0_sel:WORD_1 src1_sel:DWORD
	v_pk_fma_f16 v66, v60, v66, v85
	s_waitcnt lgkmcnt(1)
	v_pk_fma_f16 v85, v53, v90, v88
	v_pk_fma_f16 v88, v53, v67, v92
	;; [unrolled: 1-line block ×16, first 2 shown]
	s_waitcnt lgkmcnt(0)
	v_pk_fma_f16 v101, v61, v90, v102
	v_pk_fma_f16 v102, v61, v67, v106
	ds_read2_b64 v[53:56], v51 offset1:32
	v_pk_fma_f16 v105, v61, v91, v107
	v_pk_fma_f16 v61, v61, v68, v57
	;; [unrolled: 1-line block ×10, first 2 shown]
	ds_read2_b64 v[57:60], v51 offset0:64 offset1:96
	v_pk_fma_f16 v84, v64, v90, v84
	v_pk_fma_f16 v65, v64, v67, v65
	;; [unrolled: 1-line block ×3, first 2 shown]
	v_mul_u32_u24_sdwa v87, v73, v46 dst_sel:DWORD dst_unused:UNUSED_PAD src0_sel:WORD_0 src1_sel:DWORD
	v_mul_u32_u24_sdwa v73, v73, v46 dst_sel:DWORD dst_unused:UNUSED_PAD src0_sel:WORD_1 src1_sel:DWORD
	v_mul_u32_u24_sdwa v90, v74, v46 dst_sel:DWORD dst_unused:UNUSED_PAD src0_sel:WORD_0 src1_sel:DWORD
	v_mul_u32_u24_sdwa v74, v74, v46 dst_sel:DWORD dst_unused:UNUSED_PAD src0_sel:WORD_1 src1_sel:DWORD
	v_pk_fma_f16 v66, v64, v68, v66
	s_waitcnt lgkmcnt(1)
	v_pk_fma_f16 v68, v53, v87, v85
	v_pk_fma_f16 v85, v53, v73, v88
	;; [unrolled: 1-line block ×16, first 2 shown]
	s_waitcnt lgkmcnt(0)
	v_pk_fma_f16 v99, v57, v87, v101
	v_pk_fma_f16 v100, v57, v73, v102
	ds_read2_b64 v[53:56], v51 offset0:128 offset1:160
	v_pk_fma_f16 v101, v57, v90, v105
	v_pk_fma_f16 v57, v57, v74, v61
	v_pk_fma_f16 v82, v58, v87, v82
	v_pk_fma_f16 v77, v58, v73, v77
	v_pk_fma_f16 v102, v58, v90, v103
	v_pk_fma_f16 v58, v58, v74, v62
	v_pk_fma_f16 v83, v59, v87, v83
	v_pk_fma_f16 v103, v59, v73, v104
	v_pk_fma_f16 v89, v59, v90, v89
	v_pk_fma_f16 v59, v59, v74, v63
	ds_read2_b64 v[61:64], v51 offset0:192 offset1:224
	v_pk_fma_f16 v84, v60, v87, v84
	v_pk_fma_f16 v65, v60, v73, v65
	v_mul_u32_u24_sdwa v73, v75, v46 dst_sel:DWORD dst_unused:UNUSED_PAD src0_sel:WORD_0 src1_sel:DWORD
	v_mul_u32_u24_sdwa v75, v75, v46 dst_sel:DWORD dst_unused:UNUSED_PAD src0_sel:WORD_1 src1_sel:DWORD
	v_mul_u32_u24_sdwa v87, v76, v46 dst_sel:DWORD dst_unused:UNUSED_PAD src0_sel:WORD_0 src1_sel:DWORD
	v_mul_u32_u24_sdwa v76, v76, v46 dst_sel:DWORD dst_unused:UNUSED_PAD src0_sel:WORD_1 src1_sel:DWORD
	v_pk_fma_f16 v67, v60, v90, v67
	v_pk_fma_f16 v66, v60, v74, v66
	s_waitcnt lgkmcnt(1)
	v_pk_fma_f16 v74, v53, v75, v85
	v_pk_fma_f16 v85, v53, v87, v88
	;; [unrolled: 1-line block ×11, first 2 shown]
	s_waitcnt lgkmcnt(0)
	v_pk_fma_f16 v97, v61, v73, v99
	v_pk_fma_f16 v98, v61, v75, v100
	;; [unrolled: 1-line block ×9, first 2 shown]
	ds_read2_b64 v[57:60], v52 offset0:64 offset1:96
	v_pk_fma_f16 v70, v54, v75, v70
	v_pk_fma_f16 v71, v54, v87, v71
	;; [unrolled: 1-line block ×5, first 2 shown]
	ds_read2_b64 v[53:56], v52 offset1:32
	s_or_b32 s0, s8, 64
	v_mul_u32_u24_sdwa v178, v5, v46 dst_sel:DWORD dst_unused:UNUSED_PAD src0_sel:WORD_0 src1_sel:DWORD
	s_mul_hi_i32 s19, s0, s9
	s_mul_i32 s18, s0, s9
	v_mul_u32_u24_sdwa v179, v5, v46 dst_sel:DWORD dst_unused:UNUSED_PAD src0_sel:WORD_1 src1_sel:DWORD
	s_lshl_b64 s[18:19], s[18:19], 2
	v_mul_u32_u24_sdwa v180, v6, v46 dst_sel:DWORD dst_unused:UNUSED_PAD src0_sel:WORD_0 src1_sel:DWORD
	v_mul_u32_u24_sdwa v181, v6, v46 dst_sel:DWORD dst_unused:UNUSED_PAD src0_sel:WORD_1 src1_sel:DWORD
	s_add_u32 s0, s12, s18
	s_addc_u32 s15, s13, s19
	v_add_co_u32 v5, vcc_lo, s0, v27
	v_add_co_ci_u32_e64 v6, null, s15, v28, vcc_lo
	s_waitcnt lgkmcnt(1)
	v_pk_fma_f16 v194, v57, v178, v97
	v_pk_fma_f16 v195, v57, v179, v98
	;; [unrolled: 1-line block ×4, first 2 shown]
	v_add_co_u32 v57, vcc_lo, s0, v29
	v_pk_fma_f16 v198, v58, v178, v82
	v_pk_fma_f16 v77, v58, v179, v77
	;; [unrolled: 1-line block ×4, first 2 shown]
	v_add_co_ci_u32_e64 v58, null, s15, v30, vcc_lo
	v_add_co_u32 v5, vcc_lo, v5, v86
	v_add_co_ci_u32_e64 v6, null, 0, v6, vcc_lo
	v_add_co_u32 v57, vcc_lo, v57, v86
	v_add_co_ci_u32_e64 v58, null, 0, v58, vcc_lo
	v_pk_fma_f16 v171, v63, v73, v83
	v_pk_fma_f16 v172, v63, v75, v103
	;; [unrolled: 1-line block ×7, first 2 shown]
	s_waitcnt lgkmcnt(0)
	v_pk_fma_f16 v183, v53, v178, v68
	v_pk_fma_f16 v184, v53, v179, v74
	;; [unrolled: 1-line block ×16, first 2 shown]
	ds_read2_b64 v[53:56], v52 offset0:128 offset1:160
	ds_read2_b64 v[61:64], v52 offset0:192 offset1:224
	ds_read2_b64 v[65:68], v50 offset1:32
	ds_read2_b64 v[73:76], v50 offset0:64 offset1:96
	ds_read2_b64 v[82:85], v50 offset0:128 offset1:160
	;; [unrolled: 1-line block ×3, first 2 shown]
	ds_read2_b64 v[91:94], v49 offset1:32
	ds_read2_b64 v[95:98], v49 offset0:64 offset1:96
	ds_read_b128 v[99:102], v40 offset:448
	ds_read_b128 v[103:106], v40 offset:464
	ds_read2_b64 v[107:110], v49 offset0:128 offset1:160
	ds_read2_b64 v[111:114], v49 offset0:192 offset1:224
	ds_read2_b64 v[115:118], v48 offset1:32
	ds_read2_b64 v[119:122], v48 offset0:64 offset1:96
	ds_read2_b64 v[123:126], v48 offset0:128 offset1:160
	ds_read2_b64 v[127:130], v48 offset0:192 offset1:224
	ds_read2_b64 v[131:134], v47 offset1:32
	ds_read2_b64 v[135:138], v47 offset0:64 offset1:96
	ds_read_b128 v[139:142], v40 offset:480
	ds_read_b128 v[143:146], v40 offset:496
	ds_read2_b64 v[147:150], v47 offset0:128 offset1:160
	ds_read2_b64 v[151:154], v47 offset0:192 offset1:224
	s_waitcnt lgkmcnt(0)
	s_barrier
	buffer_gl0_inv
	s_clause 0x3
	global_load_dwordx4 v[155:158], v[5:6], off
	global_load_dwordx4 v[159:162], v[5:6], off offset:512
	global_load_dwordx4 v[163:166], v[57:58], off
	global_load_dwordx4 v[167:170], v[57:58], off offset:512
	v_pk_fma_f16 v5, v59, v178, v171
	v_pk_fma_f16 v6, v59, v179, v172
	;; [unrolled: 1-line block ×6, first 2 shown]
	v_mul_u32_u24_sdwa v173, v7, v46 dst_sel:DWORD dst_unused:UNUSED_PAD src0_sel:WORD_0 src1_sel:DWORD
	v_mul_u32_u24_sdwa v7, v7, v46 dst_sel:DWORD dst_unused:UNUSED_PAD src0_sel:WORD_1 src1_sel:DWORD
	v_mul_u32_u24_sdwa v174, v8, v46 dst_sel:DWORD dst_unused:UNUSED_PAD src0_sel:WORD_0 src1_sel:DWORD
	v_mul_u32_u24_sdwa v8, v8, v46 dst_sel:DWORD dst_unused:UNUSED_PAD src0_sel:WORD_1 src1_sel:DWORD
	v_pk_fma_f16 v59, v60, v178, v175
	v_pk_fma_f16 v60, v60, v181, v182
	;; [unrolled: 1-line block ×32, first 2 shown]
	v_mul_u32_u24_sdwa v171, v99, v46 dst_sel:DWORD dst_unused:UNUSED_PAD src0_sel:WORD_0 src1_sel:DWORD
	v_mul_u32_u24_sdwa v99, v99, v46 dst_sel:DWORD dst_unused:UNUSED_PAD src0_sel:WORD_1 src1_sel:DWORD
	v_mul_u32_u24_sdwa v172, v100, v46 dst_sel:DWORD dst_unused:UNUSED_PAD src0_sel:WORD_0 src1_sel:DWORD
	v_mul_u32_u24_sdwa v100, v100, v46 dst_sel:DWORD dst_unused:UNUSED_PAD src0_sel:WORD_1 src1_sel:DWORD
	v_pk_fma_f16 v59, v64, v173, v59
	v_pk_fma_f16 v8, v64, v8, v60
	;; [unrolled: 1-line block ×31, first 2 shown]
	v_mul_u32_u24_sdwa v74, v101, v46 dst_sel:DWORD dst_unused:UNUSED_PAD src0_sel:WORD_0 src1_sel:DWORD
	v_mul_u32_u24_sdwa v75, v101, v46 dst_sel:DWORD dst_unused:UNUSED_PAD src0_sel:WORD_1 src1_sel:DWORD
	v_mul_u32_u24_sdwa v99, v102, v46 dst_sel:DWORD dst_unused:UNUSED_PAD src0_sel:WORD_0 src1_sel:DWORD
	v_mul_u32_u24_sdwa v101, v102, v46 dst_sel:DWORD dst_unused:UNUSED_PAD src0_sel:WORD_1 src1_sel:DWORD
	v_pk_fma_f16 v59, v76, v171, v59
	v_pk_fma_f16 v8, v76, v100, v8
	;; [unrolled: 1-line block ×13, first 2 shown]
	v_mul_u32_u24_sdwa v88, v104, v46 dst_sel:DWORD dst_unused:UNUSED_PAD src0_sel:WORD_1 src1_sel:DWORD
	v_pk_fma_f16 v63, v76, v172, v63
	v_pk_fma_f16 v60, v82, v74, v60
	;; [unrolled: 1-line block ×17, first 2 shown]
	v_mul_u32_u24_sdwa v74, v103, v46 dst_sel:DWORD dst_unused:UNUSED_PAD src0_sel:WORD_0 src1_sel:DWORD
	v_mul_u32_u24_sdwa v75, v103, v46 dst_sel:DWORD dst_unused:UNUSED_PAD src0_sel:WORD_1 src1_sel:DWORD
	v_pk_fma_f16 v8, v90, v101, v8
	v_pk_fma_f16 v53, v91, v88, v53
	;; [unrolled: 1-line block ×5, first 2 shown]
	v_mul_u32_u24_sdwa v89, v106, v46 dst_sel:DWORD dst_unused:UNUSED_PAD src0_sel:WORD_1 src1_sel:DWORD
	v_pk_fma_f16 v76, v82, v99, v173
	v_pk_fma_f16 v82, v84, v99, v174
	v_pk_fma_f16 v84, v87, v99, v176
	v_pk_fma_f16 v63, v90, v99, v63
	v_mul_u32_u24_sdwa v87, v104, v46 dst_sel:DWORD dst_unused:UNUSED_PAD src0_sel:WORD_0 src1_sel:DWORD
	v_pk_fma_f16 v60, v91, v74, v60
	v_pk_fma_f16 v64, v91, v75, v64
	v_pk_fma_f16 v65, v92, v74, v65
	v_pk_fma_f16 v70, v92, v75, v70
	v_pk_fma_f16 v66, v93, v74, v66
	v_pk_fma_f16 v78, v93, v75, v78
	v_pk_fma_f16 v67, v94, v74, v67
	v_pk_fma_f16 v69, v94, v75, v69
	v_pk_fma_f16 v68, v95, v74, v68
	v_pk_fma_f16 v83, v95, v75, v83
	v_pk_fma_f16 v61, v95, v88, v61
	v_pk_fma_f16 v73, v96, v74, v73
	v_pk_fma_f16 v77, v96, v75, v77
	v_pk_fma_f16 v62, v96, v88, v62
	v_pk_fma_f16 v5, v97, v74, v5
	v_pk_fma_f16 v6, v97, v75, v6
	v_pk_fma_f16 v58, v97, v88, v58
	v_pk_fma_f16 v59, v98, v74, v59
	v_pk_fma_f16 v7, v98, v75, v7
	v_mul_u32_u24_sdwa v74, v105, v46 dst_sel:DWORD dst_unused:UNUSED_PAD src0_sel:WORD_0 src1_sel:DWORD
	v_mul_u32_u24_sdwa v75, v105, v46 dst_sel:DWORD dst_unused:UNUSED_PAD src0_sel:WORD_1 src1_sel:DWORD
	v_pk_fma_f16 v8, v98, v88, v8
	v_pk_fma_f16 v53, v107, v89, v53
	v_pk_fma_f16 v54, v108, v89, v54
	v_pk_fma_f16 v55, v109, v89, v55
	v_pk_fma_f16 v56, v110, v89, v56
	v_mul_u32_u24_sdwa v88, v140, v46 dst_sel:DWORD dst_unused:UNUSED_PAD src0_sel:WORD_1 src1_sel:DWORD
	v_pk_fma_f16 v76, v91, v87, v76
	v_pk_fma_f16 v71, v92, v87, v71
	v_pk_fma_f16 v82, v93, v87, v82
	v_pk_fma_f16 v79, v94, v87, v79
	v_pk_fma_f16 v84, v95, v87, v84
	v_pk_fma_f16 v85, v96, v87, v85
	v_pk_fma_f16 v57, v97, v87, v57
	v_pk_fma_f16 v63, v98, v87, v63
	v_mul_u32_u24_sdwa v87, v106, v46 dst_sel:DWORD dst_unused:UNUSED_PAD src0_sel:WORD_0 src1_sel:DWORD
	v_pk_fma_f16 v60, v107, v74, v60
	v_pk_fma_f16 v64, v107, v75, v64
	v_pk_fma_f16 v65, v108, v74, v65
	v_pk_fma_f16 v70, v108, v75, v70
	v_pk_fma_f16 v66, v109, v74, v66
	v_pk_fma_f16 v78, v109, v75, v78
	v_pk_fma_f16 v67, v110, v74, v67
	v_pk_fma_f16 v69, v110, v75, v69
	v_pk_fma_f16 v68, v111, v74, v68
	v_pk_fma_f16 v83, v111, v75, v83
	v_pk_fma_f16 v61, v111, v89, v61
	v_pk_fma_f16 v73, v112, v74, v73
	v_pk_fma_f16 v77, v112, v75, v77
	v_pk_fma_f16 v62, v112, v89, v62
	v_pk_fma_f16 v5, v113, v74, v5
	v_pk_fma_f16 v6, v113, v75, v6
	v_pk_fma_f16 v58, v113, v89, v58
	v_pk_fma_f16 v59, v114, v74, v59
	v_pk_fma_f16 v7, v114, v75, v7
	v_mul_u32_u24_sdwa v74, v139, v46 dst_sel:DWORD dst_unused:UNUSED_PAD src0_sel:WORD_0 src1_sel:DWORD
	v_mul_u32_u24_sdwa v75, v139, v46 dst_sel:DWORD dst_unused:UNUSED_PAD src0_sel:WORD_1 src1_sel:DWORD
	v_pk_fma_f16 v8, v114, v89, v8
	v_pk_fma_f16 v53, v115, v88, v53
	v_pk_fma_f16 v54, v116, v88, v54
	v_pk_fma_f16 v55, v117, v88, v55
	v_pk_fma_f16 v56, v118, v88, v56
	v_mul_u32_u24_sdwa v89, v142, v46 dst_sel:DWORD dst_unused:UNUSED_PAD src0_sel:WORD_1 src1_sel:DWORD
	v_pk_fma_f16 v76, v107, v87, v76
	v_pk_fma_f16 v71, v108, v87, v71
	v_pk_fma_f16 v82, v109, v87, v82
	v_pk_fma_f16 v79, v110, v87, v79
	;; [unrolled: 36-line block ×3, first 2 shown]
	v_pk_fma_f16 v84, v119, v87, v84
	v_pk_fma_f16 v85, v120, v87, v85
	;; [unrolled: 1-line block ×4, first 2 shown]
	v_mul_u32_u24_sdwa v87, v142, v46 dst_sel:DWORD dst_unused:UNUSED_PAD src0_sel:WORD_0 src1_sel:DWORD
	v_pk_fma_f16 v60, v123, v74, v60
	v_pk_fma_f16 v64, v123, v75, v64
	;; [unrolled: 1-line block ×16, first 2 shown]
	v_mul_u32_u24_sdwa v74, v143, v46 dst_sel:DWORD dst_unused:UNUSED_PAD src0_sel:WORD_0 src1_sel:DWORD
	v_mul_u32_u24_sdwa v75, v143, v46 dst_sel:DWORD dst_unused:UNUSED_PAD src0_sel:WORD_1 src1_sel:DWORD
	v_pk_fma_f16 v53, v131, v88, v53
	v_pk_fma_f16 v54, v132, v88, v54
	;; [unrolled: 1-line block ×4, first 2 shown]
	v_mul_u32_u24_sdwa v92, v146, v46 dst_sel:DWORD dst_unused:UNUSED_PAD src0_sel:WORD_1 src1_sel:DWORD
	v_pk_fma_f16 v76, v123, v87, v76
	v_pk_fma_f16 v71, v124, v87, v71
	;; [unrolled: 1-line block ×11, first 2 shown]
	v_mul_u32_u24_sdwa v87, v144, v46 dst_sel:DWORD dst_unused:UNUSED_PAD src0_sel:WORD_0 src1_sel:DWORD
	v_pk_fma_f16 v8, v130, v89, v8
	v_pk_fma_f16 v60, v131, v74, v60
	;; [unrolled: 1-line block ×10, first 2 shown]
	v_mul_u32_u24_sdwa v75, v145, v46 dst_sel:DWORD dst_unused:UNUSED_PAD src0_sel:WORD_0 src1_sel:DWORD
	v_pk_fma_f16 v95, v147, v92, v53
	v_pk_fma_f16 v97, v148, v92, v54
	v_pk_fma_f16 v99, v149, v92, v55
	v_pk_fma_f16 v101, v150, v92, v56
	s_waitcnt vmcnt(3)
	ds_write_b128 v41, v[155:158]
	s_waitcnt vmcnt(2)
	ds_write_b128 v42, v[159:162]
	;; [unrolled: 2-line block ×4, first 2 shown]
	s_waitcnt lgkmcnt(0)
	s_barrier
	buffer_gl0_inv
	ds_read_b128 v[53:56], v40 offset:512
	v_pk_fma_f16 v65, v132, v74, v65
	v_pk_fma_f16 v66, v133, v74, v66
	;; [unrolled: 1-line block ×13, first 2 shown]
	ds_read2_b64 v[57:60], v81 offset1:32
	v_pk_fma_f16 v76, v131, v87, v76
	v_pk_fma_f16 v71, v132, v87, v71
	;; [unrolled: 1-line block ×7, first 2 shown]
	v_mul_u32_u24_sdwa v87, v145, v46 dst_sel:DWORD dst_unused:UNUSED_PAD src0_sel:WORD_1 src1_sel:DWORD
	v_mul_u32_u24_sdwa v91, v146, v46 dst_sel:DWORD dst_unused:UNUSED_PAD src0_sel:WORD_0 src1_sel:DWORD
	v_pk_fma_f16 v96, v148, v75, v65
	v_pk_fma_f16 v98, v149, v75, v66
	;; [unrolled: 1-line block ×11, first 2 shown]
	s_waitcnt lgkmcnt(1)
	v_mul_u32_u24_sdwa v109, v53, v46 dst_sel:DWORD dst_unused:UNUSED_PAD src0_sel:WORD_0 src1_sel:DWORD
	v_mul_u32_u24_sdwa v53, v53, v46 dst_sel:DWORD dst_unused:UNUSED_PAD src0_sel:WORD_1 src1_sel:DWORD
	v_mul_u32_u24_sdwa v110, v54, v46 dst_sel:DWORD dst_unused:UNUSED_PAD src0_sel:WORD_0 src1_sel:DWORD
	v_mul_u32_u24_sdwa v54, v54, v46 dst_sel:DWORD dst_unused:UNUSED_PAD src0_sel:WORD_1 src1_sel:DWORD
	v_pk_fma_f16 v102, v151, v75, v68
	v_pk_fma_f16 v84, v151, v91, v84
	v_pk_fma_f16 v103, v151, v92, v61
	v_pk_fma_f16 v85, v152, v91, v85
	v_pk_fma_f16 v105, v152, v92, v62
	v_pk_fma_f16 v89, v153, v91, v89
	v_pk_fma_f16 v91, v154, v91, v63
	ds_read2_b64 v[61:64], v81 offset0:64 offset1:96
	ds_read_b128 v[65:68], v40 offset:528
	v_pk_fma_f16 v83, v151, v87, v83
	v_pk_fma_f16 v104, v152, v75, v73
	;; [unrolled: 1-line block ×9, first 2 shown]
	ds_read_b128 v[73:76], v40 offset:544
	ds_read_b128 v[5:8], v40 offset:560
	s_waitcnt lgkmcnt(4)
	v_pk_fma_f16 v88, v57, v109, v88
	v_pk_fma_f16 v93, v57, v53, v93
	;; [unrolled: 1-line block ×16, first 2 shown]
	ds_read2_b64 v[57:60], v81 offset0:128 offset1:160
	s_waitcnt lgkmcnt(4)
	v_pk_fma_f16 v102, v61, v109, v102
	v_pk_fma_f16 v112, v61, v53, v83
	;; [unrolled: 1-line block ×14, first 2 shown]
	ds_read2_b64 v[82:85], v81 offset0:192 offset1:224
	v_mul_u32_u24_sdwa v107, v55, v46 dst_sel:DWORD dst_unused:UNUSED_PAD src0_sel:WORD_0 src1_sel:DWORD
	v_mul_u32_u24_sdwa v108, v55, v46 dst_sel:DWORD dst_unused:UNUSED_PAD src0_sel:WORD_1 src1_sel:DWORD
	v_mul_u32_u24_sdwa v109, v56, v46 dst_sel:DWORD dst_unused:UNUSED_PAD src0_sel:WORD_0 src1_sel:DWORD
	v_mul_u32_u24_sdwa v110, v56, v46 dst_sel:DWORD dst_unused:UNUSED_PAD src0_sel:WORD_1 src1_sel:DWORD
	v_pk_fma_f16 v87, v64, v53, v87
	v_pk_fma_f16 v64, v64, v54, v92
	s_waitcnt lgkmcnt(1)
	v_pk_fma_f16 v88, v57, v107, v88
	v_pk_fma_f16 v92, v57, v108, v93
	;; [unrolled: 1-line block ×16, first 2 shown]
	ds_read2_b64 v[53:56], v80 offset1:32
	ds_read2_b64 v[57:60], v80 offset0:64 offset1:96
	s_waitcnt lgkmcnt(2)
	v_pk_fma_f16 v102, v82, v107, v102
	v_pk_fma_f16 v111, v82, v108, v112
	;; [unrolled: 1-line block ×14, first 2 shown]
	v_mul_u32_u24_sdwa v91, v65, v46 dst_sel:DWORD dst_unused:UNUSED_PAD src0_sel:WORD_0 src1_sel:DWORD
	v_mul_u32_u24_sdwa v65, v65, v46 dst_sel:DWORD dst_unused:UNUSED_PAD src0_sel:WORD_1 src1_sel:DWORD
	v_mul_u32_u24_sdwa v105, v66, v46 dst_sel:DWORD dst_unused:UNUSED_PAD src0_sel:WORD_0 src1_sel:DWORD
	v_mul_u32_u24_sdwa v66, v66, v46 dst_sel:DWORD dst_unused:UNUSED_PAD src0_sel:WORD_1 src1_sel:DWORD
	v_pk_fma_f16 v87, v85, v108, v87
	v_pk_fma_f16 v85, v85, v110, v64
	s_waitcnt lgkmcnt(1)
	v_pk_fma_f16 v88, v53, v91, v88
	v_pk_fma_f16 v92, v53, v65, v92
	;; [unrolled: 1-line block ×16, first 2 shown]
	s_waitcnt lgkmcnt(0)
	v_pk_fma_f16 v102, v57, v91, v102
	v_pk_fma_f16 v106, v57, v65, v111
	ds_read2_b64 v[53:56], v80 offset0:128 offset1:160
	v_pk_fma_f16 v107, v57, v105, v112
	v_pk_fma_f16 v57, v57, v66, v61
	;; [unrolled: 1-line block ×10, first 2 shown]
	ds_read2_b64 v[61:64], v80 offset0:192 offset1:224
	v_pk_fma_f16 v84, v60, v91, v84
	v_pk_fma_f16 v65, v60, v65, v87
	;; [unrolled: 1-line block ×3, first 2 shown]
	v_mul_u32_u24_sdwa v90, v67, v46 dst_sel:DWORD dst_unused:UNUSED_PAD src0_sel:WORD_0 src1_sel:DWORD
	v_mul_u32_u24_sdwa v67, v67, v46 dst_sel:DWORD dst_unused:UNUSED_PAD src0_sel:WORD_1 src1_sel:DWORD
	v_mul_u32_u24_sdwa v91, v68, v46 dst_sel:DWORD dst_unused:UNUSED_PAD src0_sel:WORD_0 src1_sel:DWORD
	v_mul_u32_u24_sdwa v68, v68, v46 dst_sel:DWORD dst_unused:UNUSED_PAD src0_sel:WORD_1 src1_sel:DWORD
	v_pk_fma_f16 v66, v60, v66, v85
	s_waitcnt lgkmcnt(1)
	v_pk_fma_f16 v85, v53, v90, v88
	v_pk_fma_f16 v88, v53, v67, v92
	;; [unrolled: 1-line block ×16, first 2 shown]
	s_waitcnt lgkmcnt(0)
	v_pk_fma_f16 v101, v61, v90, v102
	v_pk_fma_f16 v102, v61, v67, v106
	ds_read2_b64 v[53:56], v51 offset1:32
	v_pk_fma_f16 v105, v61, v91, v107
	v_pk_fma_f16 v61, v61, v68, v57
	;; [unrolled: 1-line block ×10, first 2 shown]
	ds_read2_b64 v[57:60], v51 offset0:64 offset1:96
	v_pk_fma_f16 v84, v64, v90, v84
	v_pk_fma_f16 v65, v64, v67, v65
	;; [unrolled: 1-line block ×3, first 2 shown]
	v_mul_u32_u24_sdwa v87, v73, v46 dst_sel:DWORD dst_unused:UNUSED_PAD src0_sel:WORD_0 src1_sel:DWORD
	v_mul_u32_u24_sdwa v73, v73, v46 dst_sel:DWORD dst_unused:UNUSED_PAD src0_sel:WORD_1 src1_sel:DWORD
	v_mul_u32_u24_sdwa v90, v74, v46 dst_sel:DWORD dst_unused:UNUSED_PAD src0_sel:WORD_0 src1_sel:DWORD
	v_mul_u32_u24_sdwa v74, v74, v46 dst_sel:DWORD dst_unused:UNUSED_PAD src0_sel:WORD_1 src1_sel:DWORD
	v_pk_fma_f16 v66, v64, v68, v66
	s_waitcnt lgkmcnt(1)
	v_pk_fma_f16 v68, v53, v87, v85
	v_pk_fma_f16 v85, v53, v73, v88
	;; [unrolled: 1-line block ×16, first 2 shown]
	s_waitcnt lgkmcnt(0)
	v_pk_fma_f16 v99, v57, v87, v101
	v_pk_fma_f16 v100, v57, v73, v102
	ds_read2_b64 v[53:56], v51 offset0:128 offset1:160
	v_pk_fma_f16 v101, v57, v90, v105
	v_pk_fma_f16 v57, v57, v74, v61
	;; [unrolled: 1-line block ×10, first 2 shown]
	ds_read2_b64 v[61:64], v51 offset0:192 offset1:224
	v_pk_fma_f16 v84, v60, v87, v84
	v_pk_fma_f16 v65, v60, v73, v65
	v_mul_u32_u24_sdwa v73, v75, v46 dst_sel:DWORD dst_unused:UNUSED_PAD src0_sel:WORD_0 src1_sel:DWORD
	v_mul_u32_u24_sdwa v75, v75, v46 dst_sel:DWORD dst_unused:UNUSED_PAD src0_sel:WORD_1 src1_sel:DWORD
	v_mul_u32_u24_sdwa v87, v76, v46 dst_sel:DWORD dst_unused:UNUSED_PAD src0_sel:WORD_0 src1_sel:DWORD
	v_mul_u32_u24_sdwa v76, v76, v46 dst_sel:DWORD dst_unused:UNUSED_PAD src0_sel:WORD_1 src1_sel:DWORD
	v_pk_fma_f16 v67, v60, v90, v67
	v_pk_fma_f16 v66, v60, v74, v66
	s_waitcnt lgkmcnt(1)
	v_pk_fma_f16 v74, v53, v75, v85
	v_pk_fma_f16 v85, v53, v87, v88
	;; [unrolled: 1-line block ×11, first 2 shown]
	s_waitcnt lgkmcnt(0)
	v_pk_fma_f16 v97, v61, v73, v99
	v_pk_fma_f16 v98, v61, v75, v100
	v_pk_fma_f16 v99, v61, v87, v101
	v_pk_fma_f16 v61, v61, v76, v57
	v_pk_fma_f16 v82, v62, v73, v82
	v_pk_fma_f16 v77, v62, v75, v77
	v_pk_fma_f16 v100, v62, v87, v102
	v_pk_fma_f16 v62, v62, v76, v58
	v_pk_fma_f16 v174, v63, v76, v59
	ds_read2_b64 v[57:60], v52 offset0:64 offset1:96
	v_pk_fma_f16 v70, v54, v75, v70
	v_pk_fma_f16 v71, v54, v87, v71
	;; [unrolled: 1-line block ×5, first 2 shown]
	ds_read2_b64 v[53:56], v52 offset1:32
	s_or_b32 s0, s8, 0x50
	v_mul_u32_u24_sdwa v178, v5, v46 dst_sel:DWORD dst_unused:UNUSED_PAD src0_sel:WORD_0 src1_sel:DWORD
	s_mul_hi_i32 s19, s0, s9
	s_mul_i32 s18, s0, s9
	v_mul_u32_u24_sdwa v179, v5, v46 dst_sel:DWORD dst_unused:UNUSED_PAD src0_sel:WORD_1 src1_sel:DWORD
	s_lshl_b64 s[18:19], s[18:19], 2
	v_mul_u32_u24_sdwa v180, v6, v46 dst_sel:DWORD dst_unused:UNUSED_PAD src0_sel:WORD_0 src1_sel:DWORD
	v_mul_u32_u24_sdwa v181, v6, v46 dst_sel:DWORD dst_unused:UNUSED_PAD src0_sel:WORD_1 src1_sel:DWORD
	s_add_u32 s0, s12, s18
	s_addc_u32 s15, s13, s19
	v_add_co_u32 v5, vcc_lo, s0, v27
	v_add_co_ci_u32_e64 v6, null, s15, v28, vcc_lo
	s_waitcnt lgkmcnt(1)
	v_pk_fma_f16 v194, v57, v178, v97
	v_pk_fma_f16 v195, v57, v179, v98
	;; [unrolled: 1-line block ×4, first 2 shown]
	v_add_co_u32 v57, vcc_lo, s0, v29
	v_pk_fma_f16 v198, v58, v178, v82
	v_pk_fma_f16 v77, v58, v179, v77
	;; [unrolled: 1-line block ×4, first 2 shown]
	v_add_co_ci_u32_e64 v58, null, s15, v30, vcc_lo
	v_add_co_u32 v5, vcc_lo, v5, v86
	v_add_co_ci_u32_e64 v6, null, 0, v6, vcc_lo
	v_add_co_u32 v57, vcc_lo, v57, v86
	v_add_co_ci_u32_e64 v58, null, 0, v58, vcc_lo
	v_pk_fma_f16 v171, v63, v73, v83
	v_pk_fma_f16 v172, v63, v75, v103
	;; [unrolled: 1-line block ×7, first 2 shown]
	s_waitcnt lgkmcnt(0)
	v_pk_fma_f16 v183, v53, v178, v68
	v_pk_fma_f16 v184, v53, v179, v74
	;; [unrolled: 1-line block ×16, first 2 shown]
	ds_read2_b64 v[53:56], v52 offset0:128 offset1:160
	ds_read2_b64 v[61:64], v52 offset0:192 offset1:224
	ds_read2_b64 v[65:68], v50 offset1:32
	ds_read2_b64 v[73:76], v50 offset0:64 offset1:96
	ds_read2_b64 v[82:85], v50 offset0:128 offset1:160
	;; [unrolled: 1-line block ×3, first 2 shown]
	ds_read2_b64 v[91:94], v49 offset1:32
	ds_read2_b64 v[95:98], v49 offset0:64 offset1:96
	ds_read_b128 v[99:102], v40 offset:576
	ds_read_b128 v[103:106], v40 offset:592
	ds_read2_b64 v[107:110], v49 offset0:128 offset1:160
	ds_read2_b64 v[111:114], v49 offset0:192 offset1:224
	ds_read2_b64 v[115:118], v48 offset1:32
	ds_read2_b64 v[119:122], v48 offset0:64 offset1:96
	ds_read2_b64 v[123:126], v48 offset0:128 offset1:160
	;; [unrolled: 1-line block ×3, first 2 shown]
	ds_read2_b64 v[131:134], v47 offset1:32
	ds_read2_b64 v[135:138], v47 offset0:64 offset1:96
	ds_read_b128 v[139:142], v40 offset:608
	ds_read_b128 v[143:146], v40 offset:624
	ds_read2_b64 v[147:150], v47 offset0:128 offset1:160
	ds_read2_b64 v[151:154], v47 offset0:192 offset1:224
	s_waitcnt lgkmcnt(0)
	s_barrier
	buffer_gl0_inv
	s_clause 0x3
	global_load_dwordx4 v[155:158], v[5:6], off
	global_load_dwordx4 v[159:162], v[5:6], off offset:512
	global_load_dwordx4 v[163:166], v[57:58], off
	global_load_dwordx4 v[167:170], v[57:58], off offset:512
	v_pk_fma_f16 v5, v59, v178, v171
	v_pk_fma_f16 v6, v59, v179, v172
	v_pk_fma_f16 v57, v59, v180, v173
	v_pk_fma_f16 v58, v59, v181, v174
	v_pk_fma_f16 v171, v60, v179, v176
	v_pk_fma_f16 v172, v60, v180, v177
	v_mul_u32_u24_sdwa v173, v7, v46 dst_sel:DWORD dst_unused:UNUSED_PAD src0_sel:WORD_0 src1_sel:DWORD
	v_mul_u32_u24_sdwa v7, v7, v46 dst_sel:DWORD dst_unused:UNUSED_PAD src0_sel:WORD_1 src1_sel:DWORD
	v_mul_u32_u24_sdwa v174, v8, v46 dst_sel:DWORD dst_unused:UNUSED_PAD src0_sel:WORD_0 src1_sel:DWORD
	v_mul_u32_u24_sdwa v8, v8, v46 dst_sel:DWORD dst_unused:UNUSED_PAD src0_sel:WORD_1 src1_sel:DWORD
	v_pk_fma_f16 v59, v60, v178, v175
	v_pk_fma_f16 v60, v60, v181, v182
	;; [unrolled: 1-line block ×32, first 2 shown]
	v_mul_u32_u24_sdwa v171, v99, v46 dst_sel:DWORD dst_unused:UNUSED_PAD src0_sel:WORD_0 src1_sel:DWORD
	v_mul_u32_u24_sdwa v99, v99, v46 dst_sel:DWORD dst_unused:UNUSED_PAD src0_sel:WORD_1 src1_sel:DWORD
	v_mul_u32_u24_sdwa v172, v100, v46 dst_sel:DWORD dst_unused:UNUSED_PAD src0_sel:WORD_0 src1_sel:DWORD
	v_mul_u32_u24_sdwa v100, v100, v46 dst_sel:DWORD dst_unused:UNUSED_PAD src0_sel:WORD_1 src1_sel:DWORD
	v_pk_fma_f16 v59, v64, v173, v59
	v_pk_fma_f16 v8, v64, v8, v60
	;; [unrolled: 1-line block ×31, first 2 shown]
	v_mul_u32_u24_sdwa v74, v101, v46 dst_sel:DWORD dst_unused:UNUSED_PAD src0_sel:WORD_0 src1_sel:DWORD
	v_mul_u32_u24_sdwa v75, v101, v46 dst_sel:DWORD dst_unused:UNUSED_PAD src0_sel:WORD_1 src1_sel:DWORD
	v_mul_u32_u24_sdwa v99, v102, v46 dst_sel:DWORD dst_unused:UNUSED_PAD src0_sel:WORD_0 src1_sel:DWORD
	v_mul_u32_u24_sdwa v101, v102, v46 dst_sel:DWORD dst_unused:UNUSED_PAD src0_sel:WORD_1 src1_sel:DWORD
	v_pk_fma_f16 v59, v76, v171, v59
	v_pk_fma_f16 v8, v76, v100, v8
	;; [unrolled: 1-line block ×13, first 2 shown]
	v_mul_u32_u24_sdwa v88, v104, v46 dst_sel:DWORD dst_unused:UNUSED_PAD src0_sel:WORD_1 src1_sel:DWORD
	v_pk_fma_f16 v63, v76, v172, v63
	v_pk_fma_f16 v60, v82, v74, v60
	;; [unrolled: 1-line block ×17, first 2 shown]
	v_mul_u32_u24_sdwa v74, v103, v46 dst_sel:DWORD dst_unused:UNUSED_PAD src0_sel:WORD_0 src1_sel:DWORD
	v_mul_u32_u24_sdwa v75, v103, v46 dst_sel:DWORD dst_unused:UNUSED_PAD src0_sel:WORD_1 src1_sel:DWORD
	v_pk_fma_f16 v8, v90, v101, v8
	v_pk_fma_f16 v53, v91, v88, v53
	;; [unrolled: 1-line block ×5, first 2 shown]
	v_mul_u32_u24_sdwa v89, v106, v46 dst_sel:DWORD dst_unused:UNUSED_PAD src0_sel:WORD_1 src1_sel:DWORD
	v_pk_fma_f16 v76, v82, v99, v173
	v_pk_fma_f16 v82, v84, v99, v174
	v_pk_fma_f16 v84, v87, v99, v176
	v_pk_fma_f16 v63, v90, v99, v63
	v_mul_u32_u24_sdwa v87, v104, v46 dst_sel:DWORD dst_unused:UNUSED_PAD src0_sel:WORD_0 src1_sel:DWORD
	v_pk_fma_f16 v60, v91, v74, v60
	v_pk_fma_f16 v64, v91, v75, v64
	v_pk_fma_f16 v65, v92, v74, v65
	v_pk_fma_f16 v70, v92, v75, v70
	v_pk_fma_f16 v66, v93, v74, v66
	v_pk_fma_f16 v78, v93, v75, v78
	v_pk_fma_f16 v67, v94, v74, v67
	v_pk_fma_f16 v69, v94, v75, v69
	v_pk_fma_f16 v68, v95, v74, v68
	v_pk_fma_f16 v83, v95, v75, v83
	v_pk_fma_f16 v61, v95, v88, v61
	v_pk_fma_f16 v73, v96, v74, v73
	v_pk_fma_f16 v77, v96, v75, v77
	v_pk_fma_f16 v62, v96, v88, v62
	v_pk_fma_f16 v5, v97, v74, v5
	v_pk_fma_f16 v6, v97, v75, v6
	v_pk_fma_f16 v58, v97, v88, v58
	v_pk_fma_f16 v59, v98, v74, v59
	v_pk_fma_f16 v7, v98, v75, v7
	v_mul_u32_u24_sdwa v74, v105, v46 dst_sel:DWORD dst_unused:UNUSED_PAD src0_sel:WORD_0 src1_sel:DWORD
	v_mul_u32_u24_sdwa v75, v105, v46 dst_sel:DWORD dst_unused:UNUSED_PAD src0_sel:WORD_1 src1_sel:DWORD
	v_pk_fma_f16 v8, v98, v88, v8
	v_pk_fma_f16 v53, v107, v89, v53
	v_pk_fma_f16 v54, v108, v89, v54
	v_pk_fma_f16 v55, v109, v89, v55
	v_pk_fma_f16 v56, v110, v89, v56
	v_mul_u32_u24_sdwa v88, v140, v46 dst_sel:DWORD dst_unused:UNUSED_PAD src0_sel:WORD_1 src1_sel:DWORD
	v_pk_fma_f16 v76, v91, v87, v76
	v_pk_fma_f16 v71, v92, v87, v71
	v_pk_fma_f16 v82, v93, v87, v82
	v_pk_fma_f16 v79, v94, v87, v79
	v_pk_fma_f16 v84, v95, v87, v84
	v_pk_fma_f16 v85, v96, v87, v85
	v_pk_fma_f16 v57, v97, v87, v57
	v_pk_fma_f16 v63, v98, v87, v63
	v_mul_u32_u24_sdwa v87, v106, v46 dst_sel:DWORD dst_unused:UNUSED_PAD src0_sel:WORD_0 src1_sel:DWORD
	v_pk_fma_f16 v60, v107, v74, v60
	v_pk_fma_f16 v64, v107, v75, v64
	v_pk_fma_f16 v65, v108, v74, v65
	v_pk_fma_f16 v70, v108, v75, v70
	v_pk_fma_f16 v66, v109, v74, v66
	v_pk_fma_f16 v78, v109, v75, v78
	v_pk_fma_f16 v67, v110, v74, v67
	v_pk_fma_f16 v69, v110, v75, v69
	v_pk_fma_f16 v68, v111, v74, v68
	v_pk_fma_f16 v83, v111, v75, v83
	v_pk_fma_f16 v61, v111, v89, v61
	v_pk_fma_f16 v73, v112, v74, v73
	v_pk_fma_f16 v77, v112, v75, v77
	v_pk_fma_f16 v62, v112, v89, v62
	v_pk_fma_f16 v5, v113, v74, v5
	v_pk_fma_f16 v6, v113, v75, v6
	v_pk_fma_f16 v58, v113, v89, v58
	v_pk_fma_f16 v59, v114, v74, v59
	v_pk_fma_f16 v7, v114, v75, v7
	v_mul_u32_u24_sdwa v74, v139, v46 dst_sel:DWORD dst_unused:UNUSED_PAD src0_sel:WORD_0 src1_sel:DWORD
	v_mul_u32_u24_sdwa v75, v139, v46 dst_sel:DWORD dst_unused:UNUSED_PAD src0_sel:WORD_1 src1_sel:DWORD
	v_pk_fma_f16 v8, v114, v89, v8
	v_pk_fma_f16 v53, v115, v88, v53
	v_pk_fma_f16 v54, v116, v88, v54
	v_pk_fma_f16 v55, v117, v88, v55
	v_pk_fma_f16 v56, v118, v88, v56
	v_mul_u32_u24_sdwa v89, v142, v46 dst_sel:DWORD dst_unused:UNUSED_PAD src0_sel:WORD_1 src1_sel:DWORD
	v_pk_fma_f16 v76, v107, v87, v76
	v_pk_fma_f16 v71, v108, v87, v71
	v_pk_fma_f16 v82, v109, v87, v82
	v_pk_fma_f16 v79, v110, v87, v79
	;; [unrolled: 36-line block ×3, first 2 shown]
	v_pk_fma_f16 v84, v119, v87, v84
	v_pk_fma_f16 v85, v120, v87, v85
	;; [unrolled: 1-line block ×4, first 2 shown]
	v_mul_u32_u24_sdwa v87, v142, v46 dst_sel:DWORD dst_unused:UNUSED_PAD src0_sel:WORD_0 src1_sel:DWORD
	v_pk_fma_f16 v60, v123, v74, v60
	v_pk_fma_f16 v64, v123, v75, v64
	;; [unrolled: 1-line block ×16, first 2 shown]
	v_mul_u32_u24_sdwa v74, v143, v46 dst_sel:DWORD dst_unused:UNUSED_PAD src0_sel:WORD_0 src1_sel:DWORD
	v_mul_u32_u24_sdwa v75, v143, v46 dst_sel:DWORD dst_unused:UNUSED_PAD src0_sel:WORD_1 src1_sel:DWORD
	v_pk_fma_f16 v53, v131, v88, v53
	v_pk_fma_f16 v54, v132, v88, v54
	v_pk_fma_f16 v55, v133, v88, v55
	v_pk_fma_f16 v56, v134, v88, v56
	v_mul_u32_u24_sdwa v92, v146, v46 dst_sel:DWORD dst_unused:UNUSED_PAD src0_sel:WORD_1 src1_sel:DWORD
	v_pk_fma_f16 v76, v123, v87, v76
	v_pk_fma_f16 v71, v124, v87, v71
	;; [unrolled: 1-line block ×11, first 2 shown]
	v_mul_u32_u24_sdwa v87, v144, v46 dst_sel:DWORD dst_unused:UNUSED_PAD src0_sel:WORD_0 src1_sel:DWORD
	v_pk_fma_f16 v8, v130, v89, v8
	v_pk_fma_f16 v60, v131, v74, v60
	;; [unrolled: 1-line block ×10, first 2 shown]
	v_mul_u32_u24_sdwa v75, v145, v46 dst_sel:DWORD dst_unused:UNUSED_PAD src0_sel:WORD_0 src1_sel:DWORD
	v_pk_fma_f16 v95, v147, v92, v53
	v_pk_fma_f16 v97, v148, v92, v54
	;; [unrolled: 1-line block ×4, first 2 shown]
	s_waitcnt vmcnt(3)
	ds_write_b128 v41, v[155:158]
	s_waitcnt vmcnt(2)
	ds_write_b128 v42, v[159:162]
	;; [unrolled: 2-line block ×4, first 2 shown]
	s_waitcnt lgkmcnt(0)
	s_barrier
	buffer_gl0_inv
	ds_read_b128 v[53:56], v40 offset:640
	v_pk_fma_f16 v65, v132, v74, v65
	v_pk_fma_f16 v66, v133, v74, v66
	;; [unrolled: 1-line block ×13, first 2 shown]
	ds_read2_b64 v[57:60], v81 offset1:32
	v_pk_fma_f16 v76, v131, v87, v76
	v_pk_fma_f16 v71, v132, v87, v71
	v_pk_fma_f16 v82, v133, v87, v82
	v_pk_fma_f16 v79, v134, v87, v79
	v_pk_fma_f16 v84, v135, v87, v84
	v_pk_fma_f16 v85, v136, v87, v85
	v_pk_fma_f16 v63, v138, v87, v63
	v_mul_u32_u24_sdwa v87, v145, v46 dst_sel:DWORD dst_unused:UNUSED_PAD src0_sel:WORD_1 src1_sel:DWORD
	v_mul_u32_u24_sdwa v91, v146, v46 dst_sel:DWORD dst_unused:UNUSED_PAD src0_sel:WORD_0 src1_sel:DWORD
	v_pk_fma_f16 v96, v148, v75, v65
	v_pk_fma_f16 v98, v149, v75, v66
	;; [unrolled: 1-line block ×11, first 2 shown]
	s_waitcnt lgkmcnt(1)
	v_mul_u32_u24_sdwa v109, v53, v46 dst_sel:DWORD dst_unused:UNUSED_PAD src0_sel:WORD_0 src1_sel:DWORD
	v_mul_u32_u24_sdwa v53, v53, v46 dst_sel:DWORD dst_unused:UNUSED_PAD src0_sel:WORD_1 src1_sel:DWORD
	v_mul_u32_u24_sdwa v110, v54, v46 dst_sel:DWORD dst_unused:UNUSED_PAD src0_sel:WORD_0 src1_sel:DWORD
	v_mul_u32_u24_sdwa v54, v54, v46 dst_sel:DWORD dst_unused:UNUSED_PAD src0_sel:WORD_1 src1_sel:DWORD
	v_pk_fma_f16 v102, v151, v75, v68
	v_pk_fma_f16 v84, v151, v91, v84
	;; [unrolled: 1-line block ×7, first 2 shown]
	ds_read2_b64 v[61:64], v81 offset0:64 offset1:96
	ds_read_b128 v[65:68], v40 offset:656
	v_pk_fma_f16 v83, v151, v87, v83
	v_pk_fma_f16 v104, v152, v75, v73
	;; [unrolled: 1-line block ×9, first 2 shown]
	ds_read_b128 v[73:76], v40 offset:672
	ds_read_b128 v[5:8], v40 offset:688
	s_waitcnt lgkmcnt(4)
	v_pk_fma_f16 v88, v57, v109, v88
	v_pk_fma_f16 v93, v57, v53, v93
	v_pk_fma_f16 v94, v57, v110, v94
	v_pk_fma_f16 v95, v57, v54, v95
	v_pk_fma_f16 v96, v58, v109, v96
	v_pk_fma_f16 v70, v58, v53, v70
	v_pk_fma_f16 v71, v58, v110, v71
	v_pk_fma_f16 v97, v58, v54, v97
	v_pk_fma_f16 v98, v59, v109, v98
	v_pk_fma_f16 v78, v59, v53, v78
	v_pk_fma_f16 v111, v59, v110, v82
	v_pk_fma_f16 v99, v59, v54, v99
	v_pk_fma_f16 v100, v60, v109, v100
	v_pk_fma_f16 v69, v60, v53, v69
	v_pk_fma_f16 v79, v60, v110, v79
	v_pk_fma_f16 v101, v60, v54, v101
	ds_read2_b64 v[57:60], v81 offset0:128 offset1:160
	s_waitcnt lgkmcnt(4)
	v_pk_fma_f16 v102, v61, v109, v102
	v_pk_fma_f16 v112, v61, v53, v83
	;; [unrolled: 1-line block ×14, first 2 shown]
	ds_read2_b64 v[82:85], v81 offset0:192 offset1:224
	v_mul_u32_u24_sdwa v107, v55, v46 dst_sel:DWORD dst_unused:UNUSED_PAD src0_sel:WORD_0 src1_sel:DWORD
	v_mul_u32_u24_sdwa v108, v55, v46 dst_sel:DWORD dst_unused:UNUSED_PAD src0_sel:WORD_1 src1_sel:DWORD
	v_mul_u32_u24_sdwa v109, v56, v46 dst_sel:DWORD dst_unused:UNUSED_PAD src0_sel:WORD_0 src1_sel:DWORD
	v_mul_u32_u24_sdwa v110, v56, v46 dst_sel:DWORD dst_unused:UNUSED_PAD src0_sel:WORD_1 src1_sel:DWORD
	v_pk_fma_f16 v87, v64, v53, v87
	v_pk_fma_f16 v64, v64, v54, v92
	s_waitcnt lgkmcnt(1)
	v_pk_fma_f16 v88, v57, v107, v88
	v_pk_fma_f16 v92, v57, v108, v93
	;; [unrolled: 1-line block ×16, first 2 shown]
	ds_read2_b64 v[53:56], v80 offset1:32
	ds_read2_b64 v[57:60], v80 offset0:64 offset1:96
	s_waitcnt lgkmcnt(2)
	v_pk_fma_f16 v102, v82, v107, v102
	v_pk_fma_f16 v111, v82, v108, v112
	;; [unrolled: 1-line block ×14, first 2 shown]
	v_mul_u32_u24_sdwa v91, v65, v46 dst_sel:DWORD dst_unused:UNUSED_PAD src0_sel:WORD_0 src1_sel:DWORD
	v_mul_u32_u24_sdwa v65, v65, v46 dst_sel:DWORD dst_unused:UNUSED_PAD src0_sel:WORD_1 src1_sel:DWORD
	v_mul_u32_u24_sdwa v105, v66, v46 dst_sel:DWORD dst_unused:UNUSED_PAD src0_sel:WORD_0 src1_sel:DWORD
	v_mul_u32_u24_sdwa v66, v66, v46 dst_sel:DWORD dst_unused:UNUSED_PAD src0_sel:WORD_1 src1_sel:DWORD
	v_pk_fma_f16 v87, v85, v108, v87
	v_pk_fma_f16 v85, v85, v110, v64
	s_waitcnt lgkmcnt(1)
	v_pk_fma_f16 v88, v53, v91, v88
	v_pk_fma_f16 v92, v53, v65, v92
	;; [unrolled: 1-line block ×16, first 2 shown]
	s_waitcnt lgkmcnt(0)
	v_pk_fma_f16 v102, v57, v91, v102
	v_pk_fma_f16 v106, v57, v65, v111
	ds_read2_b64 v[53:56], v80 offset0:128 offset1:160
	v_pk_fma_f16 v107, v57, v105, v112
	v_pk_fma_f16 v57, v57, v66, v61
	;; [unrolled: 1-line block ×10, first 2 shown]
	ds_read2_b64 v[61:64], v80 offset0:192 offset1:224
	v_pk_fma_f16 v84, v60, v91, v84
	v_pk_fma_f16 v65, v60, v65, v87
	;; [unrolled: 1-line block ×3, first 2 shown]
	v_mul_u32_u24_sdwa v90, v67, v46 dst_sel:DWORD dst_unused:UNUSED_PAD src0_sel:WORD_0 src1_sel:DWORD
	v_mul_u32_u24_sdwa v67, v67, v46 dst_sel:DWORD dst_unused:UNUSED_PAD src0_sel:WORD_1 src1_sel:DWORD
	v_mul_u32_u24_sdwa v91, v68, v46 dst_sel:DWORD dst_unused:UNUSED_PAD src0_sel:WORD_0 src1_sel:DWORD
	v_mul_u32_u24_sdwa v68, v68, v46 dst_sel:DWORD dst_unused:UNUSED_PAD src0_sel:WORD_1 src1_sel:DWORD
	v_pk_fma_f16 v66, v60, v66, v85
	s_waitcnt lgkmcnt(1)
	v_pk_fma_f16 v85, v53, v90, v88
	v_pk_fma_f16 v88, v53, v67, v92
	;; [unrolled: 1-line block ×16, first 2 shown]
	s_waitcnt lgkmcnt(0)
	v_pk_fma_f16 v101, v61, v90, v102
	v_pk_fma_f16 v102, v61, v67, v106
	ds_read2_b64 v[53:56], v51 offset1:32
	v_pk_fma_f16 v105, v61, v91, v107
	v_pk_fma_f16 v61, v61, v68, v57
	;; [unrolled: 1-line block ×10, first 2 shown]
	ds_read2_b64 v[57:60], v51 offset0:64 offset1:96
	v_pk_fma_f16 v84, v64, v90, v84
	v_pk_fma_f16 v65, v64, v67, v65
	;; [unrolled: 1-line block ×3, first 2 shown]
	v_mul_u32_u24_sdwa v87, v73, v46 dst_sel:DWORD dst_unused:UNUSED_PAD src0_sel:WORD_0 src1_sel:DWORD
	v_mul_u32_u24_sdwa v73, v73, v46 dst_sel:DWORD dst_unused:UNUSED_PAD src0_sel:WORD_1 src1_sel:DWORD
	v_mul_u32_u24_sdwa v90, v74, v46 dst_sel:DWORD dst_unused:UNUSED_PAD src0_sel:WORD_0 src1_sel:DWORD
	v_mul_u32_u24_sdwa v74, v74, v46 dst_sel:DWORD dst_unused:UNUSED_PAD src0_sel:WORD_1 src1_sel:DWORD
	v_pk_fma_f16 v66, v64, v68, v66
	s_waitcnt lgkmcnt(1)
	v_pk_fma_f16 v68, v53, v87, v85
	v_pk_fma_f16 v85, v53, v73, v88
	;; [unrolled: 1-line block ×16, first 2 shown]
	s_waitcnt lgkmcnt(0)
	v_pk_fma_f16 v99, v57, v87, v101
	v_pk_fma_f16 v100, v57, v73, v102
	ds_read2_b64 v[53:56], v51 offset0:128 offset1:160
	v_pk_fma_f16 v101, v57, v90, v105
	v_pk_fma_f16 v57, v57, v74, v61
	;; [unrolled: 1-line block ×10, first 2 shown]
	ds_read2_b64 v[61:64], v51 offset0:192 offset1:224
	v_pk_fma_f16 v84, v60, v87, v84
	v_pk_fma_f16 v65, v60, v73, v65
	v_mul_u32_u24_sdwa v73, v75, v46 dst_sel:DWORD dst_unused:UNUSED_PAD src0_sel:WORD_0 src1_sel:DWORD
	v_mul_u32_u24_sdwa v75, v75, v46 dst_sel:DWORD dst_unused:UNUSED_PAD src0_sel:WORD_1 src1_sel:DWORD
	v_mul_u32_u24_sdwa v87, v76, v46 dst_sel:DWORD dst_unused:UNUSED_PAD src0_sel:WORD_0 src1_sel:DWORD
	v_mul_u32_u24_sdwa v76, v76, v46 dst_sel:DWORD dst_unused:UNUSED_PAD src0_sel:WORD_1 src1_sel:DWORD
	v_pk_fma_f16 v67, v60, v90, v67
	v_pk_fma_f16 v66, v60, v74, v66
	s_waitcnt lgkmcnt(1)
	v_pk_fma_f16 v74, v53, v75, v85
	v_pk_fma_f16 v85, v53, v87, v88
	;; [unrolled: 1-line block ×11, first 2 shown]
	s_waitcnt lgkmcnt(0)
	v_pk_fma_f16 v97, v61, v73, v99
	v_pk_fma_f16 v98, v61, v75, v100
	;; [unrolled: 1-line block ×9, first 2 shown]
	ds_read2_b64 v[57:60], v52 offset0:64 offset1:96
	v_pk_fma_f16 v70, v54, v75, v70
	v_pk_fma_f16 v71, v54, v87, v71
	;; [unrolled: 1-line block ×5, first 2 shown]
	ds_read2_b64 v[53:56], v52 offset1:32
	s_or_b32 s0, s8, 0x60
	v_mul_u32_u24_sdwa v178, v5, v46 dst_sel:DWORD dst_unused:UNUSED_PAD src0_sel:WORD_0 src1_sel:DWORD
	s_mul_hi_i32 s19, s0, s9
	s_mul_i32 s18, s0, s9
	v_mul_u32_u24_sdwa v179, v5, v46 dst_sel:DWORD dst_unused:UNUSED_PAD src0_sel:WORD_1 src1_sel:DWORD
	s_lshl_b64 s[18:19], s[18:19], 2
	v_mul_u32_u24_sdwa v180, v6, v46 dst_sel:DWORD dst_unused:UNUSED_PAD src0_sel:WORD_0 src1_sel:DWORD
	v_mul_u32_u24_sdwa v181, v6, v46 dst_sel:DWORD dst_unused:UNUSED_PAD src0_sel:WORD_1 src1_sel:DWORD
	s_add_u32 s0, s12, s18
	s_addc_u32 s15, s13, s19
	v_add_co_u32 v5, vcc_lo, s0, v27
	v_add_co_ci_u32_e64 v6, null, s15, v28, vcc_lo
	s_waitcnt lgkmcnt(1)
	v_pk_fma_f16 v194, v57, v178, v97
	v_pk_fma_f16 v195, v57, v179, v98
	;; [unrolled: 1-line block ×4, first 2 shown]
	v_add_co_u32 v57, vcc_lo, s0, v29
	v_pk_fma_f16 v198, v58, v178, v82
	v_pk_fma_f16 v77, v58, v179, v77
	;; [unrolled: 1-line block ×4, first 2 shown]
	v_add_co_ci_u32_e64 v58, null, s15, v30, vcc_lo
	v_add_co_u32 v5, vcc_lo, v5, v86
	v_add_co_ci_u32_e64 v6, null, 0, v6, vcc_lo
	v_add_co_u32 v57, vcc_lo, v57, v86
	v_add_co_ci_u32_e64 v58, null, 0, v58, vcc_lo
	v_pk_fma_f16 v171, v63, v73, v83
	v_pk_fma_f16 v172, v63, v75, v103
	v_pk_fma_f16 v173, v63, v87, v89
	v_pk_fma_f16 v175, v64, v73, v84
	v_pk_fma_f16 v176, v64, v75, v65
	v_pk_fma_f16 v177, v64, v87, v67
	v_pk_fma_f16 v182, v64, v76, v66
	s_waitcnt lgkmcnt(0)
	v_pk_fma_f16 v183, v53, v178, v68
	v_pk_fma_f16 v184, v53, v179, v74
	;; [unrolled: 1-line block ×16, first 2 shown]
	ds_read2_b64 v[53:56], v52 offset0:128 offset1:160
	ds_read2_b64 v[61:64], v52 offset0:192 offset1:224
	ds_read2_b64 v[65:68], v50 offset1:32
	ds_read2_b64 v[73:76], v50 offset0:64 offset1:96
	ds_read2_b64 v[82:85], v50 offset0:128 offset1:160
	;; [unrolled: 1-line block ×3, first 2 shown]
	ds_read2_b64 v[91:94], v49 offset1:32
	ds_read2_b64 v[95:98], v49 offset0:64 offset1:96
	ds_read_b128 v[99:102], v40 offset:704
	ds_read_b128 v[103:106], v40 offset:720
	ds_read2_b64 v[107:110], v49 offset0:128 offset1:160
	ds_read2_b64 v[111:114], v49 offset0:192 offset1:224
	ds_read2_b64 v[115:118], v48 offset1:32
	ds_read2_b64 v[119:122], v48 offset0:64 offset1:96
	ds_read2_b64 v[123:126], v48 offset0:128 offset1:160
	;; [unrolled: 1-line block ×3, first 2 shown]
	ds_read2_b64 v[131:134], v47 offset1:32
	ds_read2_b64 v[135:138], v47 offset0:64 offset1:96
	ds_read_b128 v[139:142], v40 offset:736
	ds_read_b128 v[143:146], v40 offset:752
	ds_read2_b64 v[147:150], v47 offset0:128 offset1:160
	ds_read2_b64 v[151:154], v47 offset0:192 offset1:224
	s_waitcnt lgkmcnt(0)
	s_barrier
	buffer_gl0_inv
	s_clause 0x3
	global_load_dwordx4 v[155:158], v[5:6], off
	global_load_dwordx4 v[159:162], v[5:6], off offset:512
	global_load_dwordx4 v[163:166], v[57:58], off
	global_load_dwordx4 v[167:170], v[57:58], off offset:512
	v_pk_fma_f16 v5, v59, v178, v171
	v_pk_fma_f16 v6, v59, v179, v172
	;; [unrolled: 1-line block ×6, first 2 shown]
	v_mul_u32_u24_sdwa v173, v7, v46 dst_sel:DWORD dst_unused:UNUSED_PAD src0_sel:WORD_0 src1_sel:DWORD
	v_mul_u32_u24_sdwa v7, v7, v46 dst_sel:DWORD dst_unused:UNUSED_PAD src0_sel:WORD_1 src1_sel:DWORD
	v_mul_u32_u24_sdwa v174, v8, v46 dst_sel:DWORD dst_unused:UNUSED_PAD src0_sel:WORD_0 src1_sel:DWORD
	v_mul_u32_u24_sdwa v8, v8, v46 dst_sel:DWORD dst_unused:UNUSED_PAD src0_sel:WORD_1 src1_sel:DWORD
	v_pk_fma_f16 v59, v60, v178, v175
	v_pk_fma_f16 v60, v60, v181, v182
	;; [unrolled: 1-line block ×32, first 2 shown]
	v_mul_u32_u24_sdwa v171, v99, v46 dst_sel:DWORD dst_unused:UNUSED_PAD src0_sel:WORD_0 src1_sel:DWORD
	v_mul_u32_u24_sdwa v99, v99, v46 dst_sel:DWORD dst_unused:UNUSED_PAD src0_sel:WORD_1 src1_sel:DWORD
	v_mul_u32_u24_sdwa v172, v100, v46 dst_sel:DWORD dst_unused:UNUSED_PAD src0_sel:WORD_0 src1_sel:DWORD
	v_mul_u32_u24_sdwa v100, v100, v46 dst_sel:DWORD dst_unused:UNUSED_PAD src0_sel:WORD_1 src1_sel:DWORD
	v_pk_fma_f16 v59, v64, v173, v59
	v_pk_fma_f16 v8, v64, v8, v60
	;; [unrolled: 1-line block ×31, first 2 shown]
	v_mul_u32_u24_sdwa v74, v101, v46 dst_sel:DWORD dst_unused:UNUSED_PAD src0_sel:WORD_0 src1_sel:DWORD
	v_mul_u32_u24_sdwa v75, v101, v46 dst_sel:DWORD dst_unused:UNUSED_PAD src0_sel:WORD_1 src1_sel:DWORD
	v_mul_u32_u24_sdwa v99, v102, v46 dst_sel:DWORD dst_unused:UNUSED_PAD src0_sel:WORD_0 src1_sel:DWORD
	v_mul_u32_u24_sdwa v101, v102, v46 dst_sel:DWORD dst_unused:UNUSED_PAD src0_sel:WORD_1 src1_sel:DWORD
	v_pk_fma_f16 v59, v76, v171, v59
	v_pk_fma_f16 v8, v76, v100, v8
	;; [unrolled: 1-line block ×13, first 2 shown]
	v_mul_u32_u24_sdwa v88, v104, v46 dst_sel:DWORD dst_unused:UNUSED_PAD src0_sel:WORD_1 src1_sel:DWORD
	v_pk_fma_f16 v63, v76, v172, v63
	v_pk_fma_f16 v60, v82, v74, v60
	;; [unrolled: 1-line block ×17, first 2 shown]
	v_mul_u32_u24_sdwa v74, v103, v46 dst_sel:DWORD dst_unused:UNUSED_PAD src0_sel:WORD_0 src1_sel:DWORD
	v_mul_u32_u24_sdwa v75, v103, v46 dst_sel:DWORD dst_unused:UNUSED_PAD src0_sel:WORD_1 src1_sel:DWORD
	v_pk_fma_f16 v8, v90, v101, v8
	v_pk_fma_f16 v53, v91, v88, v53
	;; [unrolled: 1-line block ×5, first 2 shown]
	v_mul_u32_u24_sdwa v89, v106, v46 dst_sel:DWORD dst_unused:UNUSED_PAD src0_sel:WORD_1 src1_sel:DWORD
	v_pk_fma_f16 v76, v82, v99, v173
	v_pk_fma_f16 v82, v84, v99, v174
	v_pk_fma_f16 v84, v87, v99, v176
	v_pk_fma_f16 v63, v90, v99, v63
	v_mul_u32_u24_sdwa v87, v104, v46 dst_sel:DWORD dst_unused:UNUSED_PAD src0_sel:WORD_0 src1_sel:DWORD
	v_pk_fma_f16 v60, v91, v74, v60
	v_pk_fma_f16 v64, v91, v75, v64
	v_pk_fma_f16 v65, v92, v74, v65
	v_pk_fma_f16 v70, v92, v75, v70
	v_pk_fma_f16 v66, v93, v74, v66
	v_pk_fma_f16 v78, v93, v75, v78
	v_pk_fma_f16 v67, v94, v74, v67
	v_pk_fma_f16 v69, v94, v75, v69
	v_pk_fma_f16 v68, v95, v74, v68
	v_pk_fma_f16 v83, v95, v75, v83
	v_pk_fma_f16 v61, v95, v88, v61
	v_pk_fma_f16 v73, v96, v74, v73
	v_pk_fma_f16 v77, v96, v75, v77
	v_pk_fma_f16 v62, v96, v88, v62
	v_pk_fma_f16 v5, v97, v74, v5
	v_pk_fma_f16 v6, v97, v75, v6
	v_pk_fma_f16 v58, v97, v88, v58
	v_pk_fma_f16 v59, v98, v74, v59
	v_pk_fma_f16 v7, v98, v75, v7
	v_mul_u32_u24_sdwa v74, v105, v46 dst_sel:DWORD dst_unused:UNUSED_PAD src0_sel:WORD_0 src1_sel:DWORD
	v_mul_u32_u24_sdwa v75, v105, v46 dst_sel:DWORD dst_unused:UNUSED_PAD src0_sel:WORD_1 src1_sel:DWORD
	v_pk_fma_f16 v8, v98, v88, v8
	v_pk_fma_f16 v53, v107, v89, v53
	v_pk_fma_f16 v54, v108, v89, v54
	v_pk_fma_f16 v55, v109, v89, v55
	v_pk_fma_f16 v56, v110, v89, v56
	v_mul_u32_u24_sdwa v88, v140, v46 dst_sel:DWORD dst_unused:UNUSED_PAD src0_sel:WORD_1 src1_sel:DWORD
	v_pk_fma_f16 v76, v91, v87, v76
	v_pk_fma_f16 v71, v92, v87, v71
	v_pk_fma_f16 v82, v93, v87, v82
	v_pk_fma_f16 v79, v94, v87, v79
	v_pk_fma_f16 v84, v95, v87, v84
	v_pk_fma_f16 v85, v96, v87, v85
	v_pk_fma_f16 v57, v97, v87, v57
	v_pk_fma_f16 v63, v98, v87, v63
	v_mul_u32_u24_sdwa v87, v106, v46 dst_sel:DWORD dst_unused:UNUSED_PAD src0_sel:WORD_0 src1_sel:DWORD
	v_pk_fma_f16 v60, v107, v74, v60
	v_pk_fma_f16 v64, v107, v75, v64
	v_pk_fma_f16 v65, v108, v74, v65
	v_pk_fma_f16 v70, v108, v75, v70
	v_pk_fma_f16 v66, v109, v74, v66
	v_pk_fma_f16 v78, v109, v75, v78
	v_pk_fma_f16 v67, v110, v74, v67
	v_pk_fma_f16 v69, v110, v75, v69
	v_pk_fma_f16 v68, v111, v74, v68
	v_pk_fma_f16 v83, v111, v75, v83
	v_pk_fma_f16 v61, v111, v89, v61
	v_pk_fma_f16 v73, v112, v74, v73
	v_pk_fma_f16 v77, v112, v75, v77
	v_pk_fma_f16 v62, v112, v89, v62
	v_pk_fma_f16 v5, v113, v74, v5
	v_pk_fma_f16 v6, v113, v75, v6
	v_pk_fma_f16 v58, v113, v89, v58
	v_pk_fma_f16 v59, v114, v74, v59
	v_pk_fma_f16 v7, v114, v75, v7
	v_mul_u32_u24_sdwa v74, v139, v46 dst_sel:DWORD dst_unused:UNUSED_PAD src0_sel:WORD_0 src1_sel:DWORD
	v_mul_u32_u24_sdwa v75, v139, v46 dst_sel:DWORD dst_unused:UNUSED_PAD src0_sel:WORD_1 src1_sel:DWORD
	v_pk_fma_f16 v8, v114, v89, v8
	v_pk_fma_f16 v53, v115, v88, v53
	v_pk_fma_f16 v54, v116, v88, v54
	v_pk_fma_f16 v55, v117, v88, v55
	v_pk_fma_f16 v56, v118, v88, v56
	v_mul_u32_u24_sdwa v89, v142, v46 dst_sel:DWORD dst_unused:UNUSED_PAD src0_sel:WORD_1 src1_sel:DWORD
	v_pk_fma_f16 v76, v107, v87, v76
	v_pk_fma_f16 v71, v108, v87, v71
	v_pk_fma_f16 v82, v109, v87, v82
	v_pk_fma_f16 v79, v110, v87, v79
	;; [unrolled: 36-line block ×3, first 2 shown]
	v_pk_fma_f16 v84, v119, v87, v84
	v_pk_fma_f16 v85, v120, v87, v85
	;; [unrolled: 1-line block ×4, first 2 shown]
	v_mul_u32_u24_sdwa v87, v142, v46 dst_sel:DWORD dst_unused:UNUSED_PAD src0_sel:WORD_0 src1_sel:DWORD
	v_pk_fma_f16 v60, v123, v74, v60
	v_pk_fma_f16 v64, v123, v75, v64
	;; [unrolled: 1-line block ×16, first 2 shown]
	v_mul_u32_u24_sdwa v74, v143, v46 dst_sel:DWORD dst_unused:UNUSED_PAD src0_sel:WORD_0 src1_sel:DWORD
	v_mul_u32_u24_sdwa v75, v143, v46 dst_sel:DWORD dst_unused:UNUSED_PAD src0_sel:WORD_1 src1_sel:DWORD
	v_pk_fma_f16 v53, v131, v88, v53
	v_pk_fma_f16 v54, v132, v88, v54
	;; [unrolled: 1-line block ×4, first 2 shown]
	v_mul_u32_u24_sdwa v92, v146, v46 dst_sel:DWORD dst_unused:UNUSED_PAD src0_sel:WORD_1 src1_sel:DWORD
	v_pk_fma_f16 v76, v123, v87, v76
	v_pk_fma_f16 v71, v124, v87, v71
	;; [unrolled: 1-line block ×11, first 2 shown]
	v_mul_u32_u24_sdwa v87, v144, v46 dst_sel:DWORD dst_unused:UNUSED_PAD src0_sel:WORD_0 src1_sel:DWORD
	v_pk_fma_f16 v8, v130, v89, v8
	v_pk_fma_f16 v60, v131, v74, v60
	;; [unrolled: 1-line block ×10, first 2 shown]
	v_mul_u32_u24_sdwa v75, v145, v46 dst_sel:DWORD dst_unused:UNUSED_PAD src0_sel:WORD_0 src1_sel:DWORD
	v_pk_fma_f16 v95, v147, v92, v53
	v_pk_fma_f16 v97, v148, v92, v54
	;; [unrolled: 1-line block ×4, first 2 shown]
	s_waitcnt vmcnt(3)
	ds_write_b128 v41, v[155:158]
	s_waitcnt vmcnt(2)
	ds_write_b128 v42, v[159:162]
	;; [unrolled: 2-line block ×4, first 2 shown]
	s_waitcnt lgkmcnt(0)
	s_barrier
	buffer_gl0_inv
	ds_read_b128 v[53:56], v40 offset:768
	v_pk_fma_f16 v65, v132, v74, v65
	v_pk_fma_f16 v66, v133, v74, v66
	;; [unrolled: 1-line block ×13, first 2 shown]
	ds_read2_b64 v[57:60], v81 offset1:32
	v_pk_fma_f16 v76, v131, v87, v76
	v_pk_fma_f16 v71, v132, v87, v71
	v_pk_fma_f16 v82, v133, v87, v82
	v_pk_fma_f16 v79, v134, v87, v79
	v_pk_fma_f16 v84, v135, v87, v84
	v_pk_fma_f16 v85, v136, v87, v85
	v_pk_fma_f16 v63, v138, v87, v63
	v_mul_u32_u24_sdwa v87, v145, v46 dst_sel:DWORD dst_unused:UNUSED_PAD src0_sel:WORD_1 src1_sel:DWORD
	v_mul_u32_u24_sdwa v91, v146, v46 dst_sel:DWORD dst_unused:UNUSED_PAD src0_sel:WORD_0 src1_sel:DWORD
	v_pk_fma_f16 v96, v148, v75, v65
	v_pk_fma_f16 v98, v149, v75, v66
	;; [unrolled: 1-line block ×11, first 2 shown]
	s_waitcnt lgkmcnt(1)
	v_mul_u32_u24_sdwa v109, v53, v46 dst_sel:DWORD dst_unused:UNUSED_PAD src0_sel:WORD_0 src1_sel:DWORD
	v_mul_u32_u24_sdwa v53, v53, v46 dst_sel:DWORD dst_unused:UNUSED_PAD src0_sel:WORD_1 src1_sel:DWORD
	v_mul_u32_u24_sdwa v110, v54, v46 dst_sel:DWORD dst_unused:UNUSED_PAD src0_sel:WORD_0 src1_sel:DWORD
	v_mul_u32_u24_sdwa v54, v54, v46 dst_sel:DWORD dst_unused:UNUSED_PAD src0_sel:WORD_1 src1_sel:DWORD
	v_pk_fma_f16 v102, v151, v75, v68
	v_pk_fma_f16 v84, v151, v91, v84
	;; [unrolled: 1-line block ×7, first 2 shown]
	ds_read2_b64 v[61:64], v81 offset0:64 offset1:96
	ds_read_b128 v[65:68], v40 offset:784
	v_pk_fma_f16 v83, v151, v87, v83
	v_pk_fma_f16 v104, v152, v75, v73
	;; [unrolled: 1-line block ×9, first 2 shown]
	ds_read_b128 v[73:76], v40 offset:800
	ds_read_b128 v[5:8], v40 offset:816
	s_waitcnt lgkmcnt(4)
	v_pk_fma_f16 v88, v57, v109, v88
	v_pk_fma_f16 v93, v57, v53, v93
	;; [unrolled: 1-line block ×16, first 2 shown]
	ds_read2_b64 v[57:60], v81 offset0:128 offset1:160
	s_waitcnt lgkmcnt(4)
	v_pk_fma_f16 v102, v61, v109, v102
	v_pk_fma_f16 v112, v61, v53, v83
	;; [unrolled: 1-line block ×14, first 2 shown]
	ds_read2_b64 v[82:85], v81 offset0:192 offset1:224
	v_mul_u32_u24_sdwa v107, v55, v46 dst_sel:DWORD dst_unused:UNUSED_PAD src0_sel:WORD_0 src1_sel:DWORD
	v_mul_u32_u24_sdwa v108, v55, v46 dst_sel:DWORD dst_unused:UNUSED_PAD src0_sel:WORD_1 src1_sel:DWORD
	v_mul_u32_u24_sdwa v109, v56, v46 dst_sel:DWORD dst_unused:UNUSED_PAD src0_sel:WORD_0 src1_sel:DWORD
	v_mul_u32_u24_sdwa v110, v56, v46 dst_sel:DWORD dst_unused:UNUSED_PAD src0_sel:WORD_1 src1_sel:DWORD
	v_pk_fma_f16 v87, v64, v53, v87
	v_pk_fma_f16 v64, v64, v54, v92
	s_waitcnt lgkmcnt(1)
	v_pk_fma_f16 v88, v57, v107, v88
	v_pk_fma_f16 v92, v57, v108, v93
	;; [unrolled: 1-line block ×16, first 2 shown]
	ds_read2_b64 v[53:56], v80 offset1:32
	ds_read2_b64 v[57:60], v80 offset0:64 offset1:96
	s_waitcnt lgkmcnt(2)
	v_pk_fma_f16 v102, v82, v107, v102
	v_pk_fma_f16 v111, v82, v108, v112
	;; [unrolled: 1-line block ×14, first 2 shown]
	v_mul_u32_u24_sdwa v91, v65, v46 dst_sel:DWORD dst_unused:UNUSED_PAD src0_sel:WORD_0 src1_sel:DWORD
	v_mul_u32_u24_sdwa v65, v65, v46 dst_sel:DWORD dst_unused:UNUSED_PAD src0_sel:WORD_1 src1_sel:DWORD
	v_mul_u32_u24_sdwa v105, v66, v46 dst_sel:DWORD dst_unused:UNUSED_PAD src0_sel:WORD_0 src1_sel:DWORD
	v_mul_u32_u24_sdwa v66, v66, v46 dst_sel:DWORD dst_unused:UNUSED_PAD src0_sel:WORD_1 src1_sel:DWORD
	v_pk_fma_f16 v87, v85, v108, v87
	v_pk_fma_f16 v85, v85, v110, v64
	s_waitcnt lgkmcnt(1)
	v_pk_fma_f16 v88, v53, v91, v88
	v_pk_fma_f16 v92, v53, v65, v92
	;; [unrolled: 1-line block ×16, first 2 shown]
	s_waitcnt lgkmcnt(0)
	v_pk_fma_f16 v102, v57, v91, v102
	v_pk_fma_f16 v106, v57, v65, v111
	ds_read2_b64 v[53:56], v80 offset0:128 offset1:160
	v_pk_fma_f16 v107, v57, v105, v112
	v_pk_fma_f16 v57, v57, v66, v61
	;; [unrolled: 1-line block ×10, first 2 shown]
	ds_read2_b64 v[61:64], v80 offset0:192 offset1:224
	v_pk_fma_f16 v84, v60, v91, v84
	v_pk_fma_f16 v65, v60, v65, v87
	;; [unrolled: 1-line block ×3, first 2 shown]
	v_mul_u32_u24_sdwa v90, v67, v46 dst_sel:DWORD dst_unused:UNUSED_PAD src0_sel:WORD_0 src1_sel:DWORD
	v_mul_u32_u24_sdwa v67, v67, v46 dst_sel:DWORD dst_unused:UNUSED_PAD src0_sel:WORD_1 src1_sel:DWORD
	v_mul_u32_u24_sdwa v91, v68, v46 dst_sel:DWORD dst_unused:UNUSED_PAD src0_sel:WORD_0 src1_sel:DWORD
	v_mul_u32_u24_sdwa v68, v68, v46 dst_sel:DWORD dst_unused:UNUSED_PAD src0_sel:WORD_1 src1_sel:DWORD
	v_pk_fma_f16 v66, v60, v66, v85
	s_waitcnt lgkmcnt(1)
	v_pk_fma_f16 v85, v53, v90, v88
	v_pk_fma_f16 v88, v53, v67, v92
	;; [unrolled: 1-line block ×16, first 2 shown]
	s_waitcnt lgkmcnt(0)
	v_pk_fma_f16 v101, v61, v90, v102
	v_pk_fma_f16 v102, v61, v67, v106
	ds_read2_b64 v[53:56], v51 offset1:32
	v_pk_fma_f16 v105, v61, v91, v107
	v_pk_fma_f16 v61, v61, v68, v57
	;; [unrolled: 1-line block ×10, first 2 shown]
	ds_read2_b64 v[57:60], v51 offset0:64 offset1:96
	v_pk_fma_f16 v84, v64, v90, v84
	v_pk_fma_f16 v65, v64, v67, v65
	;; [unrolled: 1-line block ×3, first 2 shown]
	v_mul_u32_u24_sdwa v87, v73, v46 dst_sel:DWORD dst_unused:UNUSED_PAD src0_sel:WORD_0 src1_sel:DWORD
	v_mul_u32_u24_sdwa v73, v73, v46 dst_sel:DWORD dst_unused:UNUSED_PAD src0_sel:WORD_1 src1_sel:DWORD
	v_mul_u32_u24_sdwa v90, v74, v46 dst_sel:DWORD dst_unused:UNUSED_PAD src0_sel:WORD_0 src1_sel:DWORD
	v_mul_u32_u24_sdwa v74, v74, v46 dst_sel:DWORD dst_unused:UNUSED_PAD src0_sel:WORD_1 src1_sel:DWORD
	v_pk_fma_f16 v66, v64, v68, v66
	s_waitcnt lgkmcnt(1)
	v_pk_fma_f16 v68, v53, v87, v85
	v_pk_fma_f16 v85, v53, v73, v88
	;; [unrolled: 1-line block ×16, first 2 shown]
	s_waitcnt lgkmcnt(0)
	v_pk_fma_f16 v99, v57, v87, v101
	v_pk_fma_f16 v100, v57, v73, v102
	ds_read2_b64 v[53:56], v51 offset0:128 offset1:160
	v_pk_fma_f16 v101, v57, v90, v105
	v_pk_fma_f16 v57, v57, v74, v61
	;; [unrolled: 1-line block ×10, first 2 shown]
	ds_read2_b64 v[61:64], v51 offset0:192 offset1:224
	v_pk_fma_f16 v84, v60, v87, v84
	v_pk_fma_f16 v65, v60, v73, v65
	v_mul_u32_u24_sdwa v73, v75, v46 dst_sel:DWORD dst_unused:UNUSED_PAD src0_sel:WORD_0 src1_sel:DWORD
	v_mul_u32_u24_sdwa v75, v75, v46 dst_sel:DWORD dst_unused:UNUSED_PAD src0_sel:WORD_1 src1_sel:DWORD
	v_mul_u32_u24_sdwa v87, v76, v46 dst_sel:DWORD dst_unused:UNUSED_PAD src0_sel:WORD_0 src1_sel:DWORD
	v_mul_u32_u24_sdwa v76, v76, v46 dst_sel:DWORD dst_unused:UNUSED_PAD src0_sel:WORD_1 src1_sel:DWORD
	v_pk_fma_f16 v67, v60, v90, v67
	v_pk_fma_f16 v66, v60, v74, v66
	s_waitcnt lgkmcnt(1)
	v_pk_fma_f16 v74, v53, v75, v85
	v_pk_fma_f16 v85, v53, v87, v88
	;; [unrolled: 1-line block ×11, first 2 shown]
	s_waitcnt lgkmcnt(0)
	v_pk_fma_f16 v97, v61, v73, v99
	v_pk_fma_f16 v98, v61, v75, v100
	;; [unrolled: 1-line block ×9, first 2 shown]
	ds_read2_b64 v[57:60], v52 offset0:64 offset1:96
	v_pk_fma_f16 v70, v54, v75, v70
	v_pk_fma_f16 v71, v54, v87, v71
	v_pk_fma_f16 v78, v55, v75, v78
	v_pk_fma_f16 v69, v56, v75, v69
	v_pk_fma_f16 v79, v56, v87, v79
	ds_read2_b64 v[53:56], v52 offset1:32
	s_or_b32 s0, s8, 0x70
	v_mul_u32_u24_sdwa v178, v5, v46 dst_sel:DWORD dst_unused:UNUSED_PAD src0_sel:WORD_0 src1_sel:DWORD
	s_mul_hi_i32 s19, s0, s9
	s_mul_i32 s18, s0, s9
	v_mul_u32_u24_sdwa v179, v5, v46 dst_sel:DWORD dst_unused:UNUSED_PAD src0_sel:WORD_1 src1_sel:DWORD
	s_lshl_b64 s[18:19], s[18:19], 2
	v_mul_u32_u24_sdwa v180, v6, v46 dst_sel:DWORD dst_unused:UNUSED_PAD src0_sel:WORD_0 src1_sel:DWORD
	v_mul_u32_u24_sdwa v181, v6, v46 dst_sel:DWORD dst_unused:UNUSED_PAD src0_sel:WORD_1 src1_sel:DWORD
	s_add_u32 s0, s12, s18
	s_addc_u32 s15, s13, s19
	v_add_co_u32 v5, vcc_lo, s0, v27
	v_add_co_ci_u32_e64 v6, null, s15, v28, vcc_lo
	s_waitcnt lgkmcnt(1)
	v_pk_fma_f16 v194, v57, v178, v97
	v_pk_fma_f16 v195, v57, v179, v98
	;; [unrolled: 1-line block ×4, first 2 shown]
	v_add_co_u32 v57, vcc_lo, s0, v29
	v_pk_fma_f16 v198, v58, v178, v82
	v_pk_fma_f16 v77, v58, v179, v77
	;; [unrolled: 1-line block ×4, first 2 shown]
	v_add_co_ci_u32_e64 v58, null, s15, v30, vcc_lo
	v_add_co_u32 v5, vcc_lo, v5, v86
	v_add_co_ci_u32_e64 v6, null, 0, v6, vcc_lo
	v_add_co_u32 v57, vcc_lo, v57, v86
	v_add_co_ci_u32_e64 v58, null, 0, v58, vcc_lo
	v_pk_fma_f16 v171, v63, v73, v83
	v_pk_fma_f16 v172, v63, v75, v103
	;; [unrolled: 1-line block ×7, first 2 shown]
	s_waitcnt lgkmcnt(0)
	v_pk_fma_f16 v183, v53, v178, v68
	v_pk_fma_f16 v184, v53, v179, v74
	;; [unrolled: 1-line block ×16, first 2 shown]
	ds_read2_b64 v[53:56], v52 offset0:128 offset1:160
	ds_read2_b64 v[61:64], v52 offset0:192 offset1:224
	ds_read2_b64 v[65:68], v50 offset1:32
	ds_read2_b64 v[73:76], v50 offset0:64 offset1:96
	ds_read2_b64 v[82:85], v50 offset0:128 offset1:160
	ds_read2_b64 v[87:90], v50 offset0:192 offset1:224
	ds_read2_b64 v[91:94], v49 offset1:32
	ds_read2_b64 v[95:98], v49 offset0:64 offset1:96
	ds_read_b128 v[99:102], v40 offset:832
	ds_read_b128 v[103:106], v40 offset:848
	ds_read2_b64 v[107:110], v49 offset0:128 offset1:160
	ds_read2_b64 v[111:114], v49 offset0:192 offset1:224
	ds_read2_b64 v[115:118], v48 offset1:32
	ds_read2_b64 v[119:122], v48 offset0:64 offset1:96
	ds_read2_b64 v[123:126], v48 offset0:128 offset1:160
	;; [unrolled: 1-line block ×3, first 2 shown]
	ds_read2_b64 v[131:134], v47 offset1:32
	ds_read2_b64 v[135:138], v47 offset0:64 offset1:96
	ds_read_b128 v[139:142], v40 offset:864
	ds_read_b128 v[143:146], v40 offset:880
	ds_read2_b64 v[147:150], v47 offset0:128 offset1:160
	ds_read2_b64 v[151:154], v47 offset0:192 offset1:224
	s_waitcnt lgkmcnt(0)
	s_barrier
	buffer_gl0_inv
	s_clause 0x3
	global_load_dwordx4 v[155:158], v[5:6], off
	global_load_dwordx4 v[159:162], v[5:6], off offset:512
	global_load_dwordx4 v[163:166], v[57:58], off
	global_load_dwordx4 v[167:170], v[57:58], off offset:512
	v_pk_fma_f16 v5, v59, v178, v171
	v_pk_fma_f16 v6, v59, v179, v172
	;; [unrolled: 1-line block ×7, first 2 shown]
	v_mul_u32_u24_sdwa v172, v7, v46 dst_sel:DWORD dst_unused:UNUSED_PAD src0_sel:WORD_0 src1_sel:DWORD
	v_mul_u32_u24_sdwa v7, v7, v46 dst_sel:DWORD dst_unused:UNUSED_PAD src0_sel:WORD_1 src1_sel:DWORD
	v_mul_u32_u24_sdwa v173, v8, v46 dst_sel:DWORD dst_unused:UNUSED_PAD src0_sel:WORD_0 src1_sel:DWORD
	v_mul_u32_u24_sdwa v8, v8, v46 dst_sel:DWORD dst_unused:UNUSED_PAD src0_sel:WORD_1 src1_sel:DWORD
	v_pk_fma_f16 v60, v60, v181, v182
	v_pk_fma_f16 v174, v53, v172, v183
	;; [unrolled: 1-line block ×32, first 2 shown]
	v_mul_u32_u24_sdwa v86, v99, v46 dst_sel:DWORD dst_unused:UNUSED_PAD src0_sel:WORD_0 src1_sel:DWORD
	v_mul_u32_u24_sdwa v99, v99, v46 dst_sel:DWORD dst_unused:UNUSED_PAD src0_sel:WORD_1 src1_sel:DWORD
	v_mul_u32_u24_sdwa v171, v100, v46 dst_sel:DWORD dst_unused:UNUSED_PAD src0_sel:WORD_0 src1_sel:DWORD
	v_mul_u32_u24_sdwa v100, v100, v46 dst_sel:DWORD dst_unused:UNUSED_PAD src0_sel:WORD_1 src1_sel:DWORD
	v_pk_fma_f16 v8, v64, v8, v60
	v_pk_fma_f16 v60, v65, v86, v174
	;; [unrolled: 1-line block ×31, first 2 shown]
	v_mul_u32_u24_sdwa v74, v101, v46 dst_sel:DWORD dst_unused:UNUSED_PAD src0_sel:WORD_0 src1_sel:DWORD
	v_mul_u32_u24_sdwa v75, v101, v46 dst_sel:DWORD dst_unused:UNUSED_PAD src0_sel:WORD_1 src1_sel:DWORD
	v_mul_u32_u24_sdwa v86, v102, v46 dst_sel:DWORD dst_unused:UNUSED_PAD src0_sel:WORD_0 src1_sel:DWORD
	v_mul_u32_u24_sdwa v99, v102, v46 dst_sel:DWORD dst_unused:UNUSED_PAD src0_sel:WORD_1 src1_sel:DWORD
	v_pk_fma_f16 v8, v76, v100, v8
	v_pk_fma_f16 v63, v76, v171, v63
	;; [unrolled: 1-line block ×29, first 2 shown]
	v_mul_u32_u24_sdwa v74, v103, v46 dst_sel:DWORD dst_unused:UNUSED_PAD src0_sel:WORD_0 src1_sel:DWORD
	v_mul_u32_u24_sdwa v75, v103, v46 dst_sel:DWORD dst_unused:UNUSED_PAD src0_sel:WORD_1 src1_sel:DWORD
	v_mul_u32_u24_sdwa v87, v104, v46 dst_sel:DWORD dst_unused:UNUSED_PAD src0_sel:WORD_1 src1_sel:DWORD
	v_pk_fma_f16 v8, v90, v99, v8
	v_pk_fma_f16 v79, v85, v86, v79
	;; [unrolled: 1-line block ×26, first 2 shown]
	v_mul_u32_u24_sdwa v74, v105, v46 dst_sel:DWORD dst_unused:UNUSED_PAD src0_sel:WORD_0 src1_sel:DWORD
	v_mul_u32_u24_sdwa v75, v105, v46 dst_sel:DWORD dst_unused:UNUSED_PAD src0_sel:WORD_1 src1_sel:DWORD
	v_mul_u32_u24_sdwa v88, v106, v46 dst_sel:DWORD dst_unused:UNUSED_PAD src0_sel:WORD_1 src1_sel:DWORD
	v_pk_fma_f16 v8, v98, v87, v8
	v_mul_u32_u24_sdwa v87, v140, v46 dst_sel:DWORD dst_unused:UNUSED_PAD src0_sel:WORD_1 src1_sel:DWORD
	v_pk_fma_f16 v60, v107, v74, v60
	v_pk_fma_f16 v64, v107, v75, v64
	;; [unrolled: 1-line block ×23, first 2 shown]
	v_mul_u32_u24_sdwa v74, v139, v46 dst_sel:DWORD dst_unused:UNUSED_PAD src0_sel:WORD_0 src1_sel:DWORD
	v_mul_u32_u24_sdwa v75, v139, v46 dst_sel:DWORD dst_unused:UNUSED_PAD src0_sel:WORD_1 src1_sel:DWORD
	v_pk_fma_f16 v8, v114, v88, v8
	v_pk_fma_f16 v57, v89, v86, v57
	;; [unrolled: 1-line block ×3, first 2 shown]
	v_mul_u32_u24_sdwa v86, v104, v46 dst_sel:DWORD dst_unused:UNUSED_PAD src0_sel:WORD_0 src1_sel:DWORD
	v_pk_fma_f16 v60, v115, v74, v60
	v_pk_fma_f16 v64, v115, v75, v64
	;; [unrolled: 1-line block ×23, first 2 shown]
	v_mul_u32_u24_sdwa v74, v141, v46 dst_sel:DWORD dst_unused:UNUSED_PAD src0_sel:WORD_0 src1_sel:DWORD
	v_mul_u32_u24_sdwa v75, v141, v46 dst_sel:DWORD dst_unused:UNUSED_PAD src0_sel:WORD_1 src1_sel:DWORD
	v_mul_u32_u24_sdwa v88, v142, v46 dst_sel:DWORD dst_unused:UNUSED_PAD src0_sel:WORD_1 src1_sel:DWORD
	v_pk_fma_f16 v8, v122, v87, v8
	v_pk_fma_f16 v76, v91, v86, v76
	;; [unrolled: 1-line block ×9, first 2 shown]
	v_mul_u32_u24_sdwa v86, v106, v46 dst_sel:DWORD dst_unused:UNUSED_PAD src0_sel:WORD_0 src1_sel:DWORD
	v_pk_fma_f16 v60, v123, v74, v60
	v_pk_fma_f16 v64, v123, v75, v64
	;; [unrolled: 1-line block ×23, first 2 shown]
	v_mul_u32_u24_sdwa v74, v143, v46 dst_sel:DWORD dst_unused:UNUSED_PAD src0_sel:WORD_0 src1_sel:DWORD
	v_mul_u32_u24_sdwa v75, v143, v46 dst_sel:DWORD dst_unused:UNUSED_PAD src0_sel:WORD_1 src1_sel:DWORD
	v_mul_u32_u24_sdwa v87, v144, v46 dst_sel:DWORD dst_unused:UNUSED_PAD src0_sel:WORD_1 src1_sel:DWORD
	v_pk_fma_f16 v8, v130, v88, v8
	v_pk_fma_f16 v76, v107, v86, v76
	;; [unrolled: 1-line block ×9, first 2 shown]
	v_mul_u32_u24_sdwa v86, v140, v46 dst_sel:DWORD dst_unused:UNUSED_PAD src0_sel:WORD_0 src1_sel:DWORD
	v_pk_fma_f16 v60, v131, v74, v60
	v_pk_fma_f16 v53, v131, v87, v53
	;; [unrolled: 1-line block ×17, first 2 shown]
	v_mul_u32_u24_sdwa v91, v146, v46 dst_sel:DWORD dst_unused:UNUSED_PAD src0_sel:WORD_1 src1_sel:DWORD
	v_pk_fma_f16 v87, v138, v87, v8
	s_waitcnt vmcnt(3)
	ds_write_b128 v41, v[155:158]
	s_waitcnt vmcnt(2)
	ds_write_b128 v42, v[159:162]
	;; [unrolled: 2-line block ×4, first 2 shown]
	s_waitcnt lgkmcnt(0)
	s_barrier
	buffer_gl0_inv
	ds_read_b128 v[5:8], v40 offset:896
	v_pk_fma_f16 v76, v115, v86, v76
	v_pk_fma_f16 v71, v116, v86, v71
	;; [unrolled: 1-line block ×8, first 2 shown]
	v_mul_u32_u24_sdwa v86, v142, v46 dst_sel:DWORD dst_unused:UNUSED_PAD src0_sel:WORD_0 src1_sel:DWORD
	v_pk_fma_f16 v95, v147, v91, v53
	v_pk_fma_f16 v97, v148, v91, v54
	;; [unrolled: 1-line block ×4, first 2 shown]
	ds_read2_b64 v[53:56], v81 offset1:32
	v_pk_fma_f16 v76, v123, v86, v76
	v_pk_fma_f16 v71, v124, v86, v71
	v_pk_fma_f16 v82, v125, v86, v82
	v_pk_fma_f16 v79, v126, v86, v79
	v_pk_fma_f16 v84, v127, v86, v84
	v_pk_fma_f16 v85, v128, v86, v85
	v_pk_fma_f16 v57, v129, v86, v57
	v_pk_fma_f16 v63, v130, v86, v63
	v_mul_u32_u24_sdwa v86, v144, v46 dst_sel:DWORD dst_unused:UNUSED_PAD src0_sel:WORD_0 src1_sel:DWORD
	v_pk_fma_f16 v64, v131, v75, v64
	v_pk_fma_f16 v70, v132, v75, v70
	;; [unrolled: 1-line block ×14, first 2 shown]
	v_mul_u32_u24_sdwa v75, v145, v46 dst_sel:DWORD dst_unused:UNUSED_PAD src0_sel:WORD_0 src1_sel:DWORD
	v_mul_u32_u24_sdwa v86, v145, v46 dst_sel:DWORD dst_unused:UNUSED_PAD src0_sel:WORD_1 src1_sel:DWORD
	v_mul_u32_u24_sdwa v90, v146, v46 dst_sel:DWORD dst_unused:UNUSED_PAD src0_sel:WORD_0 src1_sel:DWORD
	v_pk_fma_f16 v103, v151, v91, v61
	v_pk_fma_f16 v105, v152, v91, v62
	;; [unrolled: 1-line block ×14, first 2 shown]
	ds_read2_b64 v[57:60], v81 offset0:64 offset1:96
	ds_read_b128 v[61:64], v40 offset:912
	v_pk_fma_f16 v96, v148, v75, v65
	v_pk_fma_f16 v70, v148, v86, v70
	;; [unrolled: 1-line block ×7, first 2 shown]
	s_waitcnt lgkmcnt(3)
	v_mul_u32_u24_sdwa v91, v5, v46 dst_sel:DWORD dst_unused:UNUSED_PAD src0_sel:WORD_0 src1_sel:DWORD
	v_mul_u32_u24_sdwa v5, v5, v46 dst_sel:DWORD dst_unused:UNUSED_PAD src0_sel:WORD_1 src1_sel:DWORD
	v_mul_u32_u24_sdwa v109, v6, v46 dst_sel:DWORD dst_unused:UNUSED_PAD src0_sel:WORD_0 src1_sel:DWORD
	v_mul_u32_u24_sdwa v6, v6, v46 dst_sel:DWORD dst_unused:UNUSED_PAD src0_sel:WORD_1 src1_sel:DWORD
	v_pk_fma_f16 v102, v151, v75, v68
	v_pk_fma_f16 v83, v151, v86, v83
	;; [unrolled: 1-line block ×7, first 2 shown]
	ds_read_b128 v[65:68], v40 offset:928
	ds_read_b128 v[73:76], v40 offset:944
	s_waitcnt lgkmcnt(4)
	v_pk_fma_f16 v92, v53, v91, v92
	v_pk_fma_f16 v93, v53, v5, v93
	;; [unrolled: 1-line block ×16, first 2 shown]
	ds_read2_b64 v[53:56], v81 offset0:128 offset1:160
	s_waitcnt lgkmcnt(4)
	v_pk_fma_f16 v111, v57, v5, v83
	v_pk_fma_f16 v112, v57, v109, v84
	ds_read2_b64 v[81:84], v81 offset0:192 offset1:224
	v_pk_fma_f16 v102, v57, v91, v102
	v_pk_fma_f16 v57, v57, v6, v103
	;; [unrolled: 1-line block ×11, first 2 shown]
	v_mul_u32_u24_sdwa v105, v7, v46 dst_sel:DWORD dst_unused:UNUSED_PAD src0_sel:WORD_0 src1_sel:DWORD
	v_mul_u32_u24_sdwa v106, v7, v46 dst_sel:DWORD dst_unused:UNUSED_PAD src0_sel:WORD_1 src1_sel:DWORD
	v_mul_u32_u24_sdwa v107, v8, v46 dst_sel:DWORD dst_unused:UNUSED_PAD src0_sel:WORD_0 src1_sel:DWORD
	v_mul_u32_u24_sdwa v108, v8, v46 dst_sel:DWORD dst_unused:UNUSED_PAD src0_sel:WORD_1 src1_sel:DWORD
	v_pk_fma_f16 v86, v60, v5, v86
	v_pk_fma_f16 v90, v60, v109, v90
	;; [unrolled: 1-line block ×3, first 2 shown]
	ds_read2_b64 v[5:8], v80 offset1:32
	s_waitcnt lgkmcnt(2)
	v_pk_fma_f16 v87, v53, v105, v92
	v_pk_fma_f16 v92, v53, v106, v93
	;; [unrolled: 1-line block ×16, first 2 shown]
	ds_read2_b64 v[53:56], v80 offset0:64 offset1:96
	s_waitcnt lgkmcnt(2)
	v_pk_fma_f16 v102, v81, v105, v102
	v_pk_fma_f16 v109, v81, v106, v111
	;; [unrolled: 1-line block ×13, first 2 shown]
	v_mul_u32_u24_sdwa v91, v61, v46 dst_sel:DWORD dst_unused:UNUSED_PAD src0_sel:WORD_0 src1_sel:DWORD
	v_mul_u32_u24_sdwa v61, v61, v46 dst_sel:DWORD dst_unused:UNUSED_PAD src0_sel:WORD_1 src1_sel:DWORD
	v_mul_u32_u24_sdwa v103, v62, v46 dst_sel:DWORD dst_unused:UNUSED_PAD src0_sel:WORD_0 src1_sel:DWORD
	v_mul_u32_u24_sdwa v62, v62, v46 dst_sel:DWORD dst_unused:UNUSED_PAD src0_sel:WORD_1 src1_sel:DWORD
	v_pk_fma_f16 v86, v84, v106, v86
	s_waitcnt lgkmcnt(1)
	v_pk_fma_f16 v87, v5, v91, v87
	v_pk_fma_f16 v92, v5, v61, v92
	;; [unrolled: 1-line block ×16, first 2 shown]
	ds_read2_b64 v[5:8], v80 offset0:128 offset1:160
	v_pk_fma_f16 v90, v84, v107, v90
	v_pk_fma_f16 v84, v84, v108, v60
	s_waitcnt lgkmcnt(1)
	v_pk_fma_f16 v102, v53, v91, v102
	v_pk_fma_f16 v104, v53, v61, v109
	;; [unrolled: 1-line block ×12, first 2 shown]
	ds_read2_b64 v[57:60], v80 offset0:192 offset1:224
	v_pk_fma_f16 v61, v56, v61, v86
	v_pk_fma_f16 v86, v56, v103, v90
	v_mul_u32_u24_sdwa v80, v63, v46 dst_sel:DWORD dst_unused:UNUSED_PAD src0_sel:WORD_0 src1_sel:DWORD
	v_mul_u32_u24_sdwa v63, v63, v46 dst_sel:DWORD dst_unused:UNUSED_PAD src0_sel:WORD_1 src1_sel:DWORD
	v_mul_u32_u24_sdwa v90, v64, v46 dst_sel:DWORD dst_unused:UNUSED_PAD src0_sel:WORD_0 src1_sel:DWORD
	v_mul_u32_u24_sdwa v64, v64, v46 dst_sel:DWORD dst_unused:UNUSED_PAD src0_sel:WORD_1 src1_sel:DWORD
	v_pk_fma_f16 v83, v56, v91, v83
	v_pk_fma_f16 v62, v56, v62, v84
	s_waitcnt lgkmcnt(1)
	v_pk_fma_f16 v84, v5, v80, v87
	v_pk_fma_f16 v87, v5, v63, v92
	;; [unrolled: 1-line block ×16, first 2 shown]
	ds_read2_b64 v[5:8], v51 offset1:32
	s_waitcnt lgkmcnt(1)
	v_pk_fma_f16 v100, v57, v80, v102
	v_pk_fma_f16 v101, v57, v63, v104
	;; [unrolled: 1-line block ×12, first 2 shown]
	ds_read2_b64 v[53:56], v51 offset0:64 offset1:96
	v_pk_fma_f16 v80, v60, v80, v83
	v_pk_fma_f16 v61, v60, v63, v61
	;; [unrolled: 1-line block ×3, first 2 shown]
	v_mul_u32_u24_sdwa v83, v65, v46 dst_sel:DWORD dst_unused:UNUSED_PAD src0_sel:WORD_0 src1_sel:DWORD
	v_mul_u32_u24_sdwa v65, v65, v46 dst_sel:DWORD dst_unused:UNUSED_PAD src0_sel:WORD_1 src1_sel:DWORD
	v_mul_u32_u24_sdwa v86, v66, v46 dst_sel:DWORD dst_unused:UNUSED_PAD src0_sel:WORD_0 src1_sel:DWORD
	v_mul_u32_u24_sdwa v66, v66, v46 dst_sel:DWORD dst_unused:UNUSED_PAD src0_sel:WORD_1 src1_sel:DWORD
	v_pk_fma_f16 v62, v60, v64, v62
	s_waitcnt lgkmcnt(1)
	v_pk_fma_f16 v64, v5, v83, v84
	v_pk_fma_f16 v84, v5, v65, v87
	v_pk_fma_f16 v87, v5, v86, v91
	v_pk_fma_f16 v90, v5, v66, v92
	v_pk_fma_f16 v91, v6, v83, v93
	v_pk_fma_f16 v70, v6, v65, v70
	v_pk_fma_f16 v71, v6, v86, v71
	v_pk_fma_f16 v92, v6, v66, v94
	v_pk_fma_f16 v93, v7, v83, v95
	v_pk_fma_f16 v78, v7, v65, v78
	v_pk_fma_f16 v94, v7, v86, v96
	v_pk_fma_f16 v95, v7, v66, v97
	v_pk_fma_f16 v96, v8, v83, v98
	v_pk_fma_f16 v69, v8, v65, v69
	v_pk_fma_f16 v79, v8, v86, v79
	v_pk_fma_f16 v97, v8, v66, v99
	ds_read2_b64 v[5:8], v51 offset0:128 offset1:160
	s_waitcnt lgkmcnt(1)
	v_pk_fma_f16 v98, v53, v83, v100
	v_pk_fma_f16 v99, v53, v65, v101
	;; [unrolled: 1-line block ×12, first 2 shown]
	ds_read2_b64 v[57:60], v51 offset0:192 offset1:224
	v_pk_fma_f16 v61, v56, v65, v61
	v_mul_u32_u24_sdwa v51, v67, v46 dst_sel:DWORD dst_unused:UNUSED_PAD src0_sel:WORD_0 src1_sel:DWORD
	v_mul_u32_u24_sdwa v65, v67, v46 dst_sel:DWORD dst_unused:UNUSED_PAD src0_sel:WORD_1 src1_sel:DWORD
	v_mul_u32_u24_sdwa v67, v68, v46 dst_sel:DWORD dst_unused:UNUSED_PAD src0_sel:WORD_0 src1_sel:DWORD
	v_mul_u32_u24_sdwa v68, v68, v46 dst_sel:DWORD dst_unused:UNUSED_PAD src0_sel:WORD_1 src1_sel:DWORD
	v_pk_fma_f16 v80, v56, v83, v80
	v_pk_fma_f16 v63, v56, v86, v63
	;; [unrolled: 1-line block ×3, first 2 shown]
	s_waitcnt lgkmcnt(1)
	v_pk_fma_f16 v64, v5, v51, v64
	v_pk_fma_f16 v66, v5, v65, v84
	;; [unrolled: 1-line block ×16, first 2 shown]
	ds_read2_b64 v[5:8], v52 offset1:32
	s_waitcnt lgkmcnt(1)
	v_pk_fma_f16 v95, v57, v51, v98
	v_pk_fma_f16 v96, v57, v65, v99
	;; [unrolled: 1-line block ×12, first 2 shown]
	ds_read2_b64 v[53:56], v52 offset0:64 offset1:96
	v_pk_fma_f16 v61, v60, v65, v61
	v_pk_fma_f16 v63, v60, v67, v63
	v_mul_u32_u24_sdwa v65, v73, v46 dst_sel:DWORD dst_unused:UNUSED_PAD src0_sel:WORD_0 src1_sel:DWORD
	v_mul_u32_u24_sdwa v67, v73, v46 dst_sel:DWORD dst_unused:UNUSED_PAD src0_sel:WORD_1 src1_sel:DWORD
	v_mul_u32_u24_sdwa v73, v74, v46 dst_sel:DWORD dst_unused:UNUSED_PAD src0_sel:WORD_0 src1_sel:DWORD
	v_mul_u32_u24_sdwa v74, v74, v46 dst_sel:DWORD dst_unused:UNUSED_PAD src0_sel:WORD_1 src1_sel:DWORD
	v_pk_fma_f16 v51, v60, v51, v80
	v_pk_fma_f16 v60, v60, v68, v62
	s_waitcnt lgkmcnt(1)
	v_pk_fma_f16 v62, v5, v65, v64
	v_pk_fma_f16 v64, v5, v67, v66
	;; [unrolled: 1-line block ×16, first 2 shown]
	ds_read2_b64 v[5:8], v52 offset0:128 offset1:160
	s_waitcnt lgkmcnt(1)
	v_pk_fma_f16 v92, v53, v65, v95
	v_pk_fma_f16 v93, v53, v67, v96
	;; [unrolled: 1-line block ×10, first 2 shown]
	ds_read2_b64 v[51:54], v52 offset0:192 offset1:224
	v_pk_fma_f16 v88, v55, v67, v88
	v_pk_fma_f16 v89, v55, v73, v89
	;; [unrolled: 1-line block ×5, first 2 shown]
	v_mul_u32_u24_sdwa v67, v75, v46 dst_sel:DWORD dst_unused:UNUSED_PAD src0_sel:WORD_0 src1_sel:DWORD
	v_mul_u32_u24_sdwa v73, v75, v46 dst_sel:DWORD dst_unused:UNUSED_PAD src0_sel:WORD_1 src1_sel:DWORD
	v_mul_u32_u24_sdwa v75, v76, v46 dst_sel:DWORD dst_unused:UNUSED_PAD src0_sel:WORD_0 src1_sel:DWORD
	v_mul_u32_u24_sdwa v76, v76, v46 dst_sel:DWORD dst_unused:UNUSED_PAD src0_sel:WORD_1 src1_sel:DWORD
	v_pk_fma_f16 v74, v56, v74, v60
	ds_read_b128 v[55:58], v40 offset:960
	s_waitcnt lgkmcnt(2)
	v_pk_fma_f16 v97, v5, v67, v62
	v_pk_fma_f16 v98, v5, v73, v64
	;; [unrolled: 1-line block ×16, first 2 shown]
	ds_read2_b64 v[5:8], v50 offset1:32
	s_waitcnt lgkmcnt(2)
	v_pk_fma_f16 v92, v51, v67, v92
	v_pk_fma_f16 v93, v51, v73, v93
	;; [unrolled: 1-line block ×13, first 2 shown]
	ds_read2_b64 v[59:62], v50 offset0:64 offset1:96
	ds_read_b128 v[63:66], v40 offset:976
	v_pk_fma_f16 v51, v51, v76, v95
	v_pk_fma_f16 v52, v52, v76, v96
	s_waitcnt lgkmcnt(3)
	v_mul_u32_u24_sdwa v95, v55, v46 dst_sel:DWORD dst_unused:UNUSED_PAD src0_sel:WORD_0 src1_sel:DWORD
	v_mul_u32_u24_sdwa v55, v55, v46 dst_sel:DWORD dst_unused:UNUSED_PAD src0_sel:WORD_1 src1_sel:DWORD
	v_mul_u32_u24_sdwa v96, v56, v46 dst_sel:DWORD dst_unused:UNUSED_PAD src0_sel:WORD_0 src1_sel:DWORD
	v_mul_u32_u24_sdwa v56, v56, v46 dst_sel:DWORD dst_unused:UNUSED_PAD src0_sel:WORD_1 src1_sel:DWORD
	v_pk_fma_f16 v54, v54, v76, v74
	s_waitcnt lgkmcnt(2)
	v_pk_fma_f16 v74, v5, v95, v97
	v_pk_fma_f16 v76, v5, v55, v98
	;; [unrolled: 1-line block ×16, first 2 shown]
	ds_read2_b64 v[5:8], v50 offset0:128 offset1:160
	s_waitcnt lgkmcnt(2)
	v_pk_fma_f16 v92, v59, v95, v92
	v_pk_fma_f16 v93, v59, v55, v93
	;; [unrolled: 1-line block ×12, first 2 shown]
	ds_read2_b64 v[50:53], v50 offset0:192 offset1:224
	v_pk_fma_f16 v67, v62, v95, v67
	v_pk_fma_f16 v55, v62, v55, v73
	;; [unrolled: 1-line block ×3, first 2 shown]
	v_mul_u32_u24_sdwa v75, v57, v46 dst_sel:DWORD dst_unused:UNUSED_PAD src0_sel:WORD_0 src1_sel:DWORD
	v_mul_u32_u24_sdwa v57, v57, v46 dst_sel:DWORD dst_unused:UNUSED_PAD src0_sel:WORD_1 src1_sel:DWORD
	v_mul_u32_u24_sdwa v95, v58, v46 dst_sel:DWORD dst_unused:UNUSED_PAD src0_sel:WORD_0 src1_sel:DWORD
	v_mul_u32_u24_sdwa v58, v58, v46 dst_sel:DWORD dst_unused:UNUSED_PAD src0_sel:WORD_1 src1_sel:DWORD
	v_pk_fma_f16 v62, v62, v56, v54
	s_waitcnt lgkmcnt(1)
	v_pk_fma_f16 v74, v5, v75, v74
	v_pk_fma_f16 v76, v5, v57, v76
	;; [unrolled: 1-line block ×16, first 2 shown]
	ds_read2_b64 v[5:8], v49 offset1:32
	s_waitcnt lgkmcnt(1)
	v_pk_fma_f16 v92, v50, v75, v92
	v_pk_fma_f16 v93, v50, v57, v93
	;; [unrolled: 1-line block ×14, first 2 shown]
	ds_read2_b64 v[54:57], v49 offset0:64 offset1:96
	v_mul_u32_u24_sdwa v75, v63, v46 dst_sel:DWORD dst_unused:UNUSED_PAD src0_sel:WORD_0 src1_sel:DWORD
	v_mul_u32_u24_sdwa v63, v63, v46 dst_sel:DWORD dst_unused:UNUSED_PAD src0_sel:WORD_1 src1_sel:DWORD
	v_mul_u32_u24_sdwa v88, v64, v46 dst_sel:DWORD dst_unused:UNUSED_PAD src0_sel:WORD_0 src1_sel:DWORD
	v_mul_u32_u24_sdwa v64, v64, v46 dst_sel:DWORD dst_unused:UNUSED_PAD src0_sel:WORD_1 src1_sel:DWORD
	v_pk_fma_f16 v73, v53, v95, v73
	v_pk_fma_f16 v53, v53, v58, v62
	s_waitcnt lgkmcnt(1)
	v_pk_fma_f16 v58, v5, v75, v74
	v_pk_fma_f16 v62, v5, v63, v76
	;; [unrolled: 1-line block ×16, first 2 shown]
	ds_read2_b64 v[5:8], v49 offset0:128 offset1:160
	s_waitcnt lgkmcnt(1)
	v_pk_fma_f16 v90, v54, v75, v92
	v_pk_fma_f16 v91, v54, v63, v93
	;; [unrolled: 1-line block ×6, first 2 shown]
	ds_read2_b64 v[49:52], v49 offset0:192 offset1:224
	v_pk_fma_f16 v59, v55, v75, v59
	v_pk_fma_f16 v77, v55, v63, v77
	;; [unrolled: 1-line block ×9, first 2 shown]
	v_mul_u32_u24_sdwa v73, v65, v46 dst_sel:DWORD dst_unused:UNUSED_PAD src0_sel:WORD_0 src1_sel:DWORD
	v_mul_u32_u24_sdwa v65, v65, v46 dst_sel:DWORD dst_unused:UNUSED_PAD src0_sel:WORD_1 src1_sel:DWORD
	v_mul_u32_u24_sdwa v75, v66, v46 dst_sel:DWORD dst_unused:UNUSED_PAD src0_sel:WORD_0 src1_sel:DWORD
	v_mul_u32_u24_sdwa v66, v66, v46 dst_sel:DWORD dst_unused:UNUSED_PAD src0_sel:WORD_1 src1_sel:DWORD
	v_pk_fma_f16 v88, v57, v64, v53
	ds_read_b128 v[53:56], v40 offset:992
	s_waitcnt lgkmcnt(2)
	v_pk_fma_f16 v96, v5, v73, v58
	v_pk_fma_f16 v97, v5, v65, v62
	;; [unrolled: 1-line block ×16, first 2 shown]
	ds_read2_b64 v[5:8], v48 offset1:32
	s_waitcnt lgkmcnt(2)
	v_pk_fma_f16 v90, v49, v73, v90
	v_pk_fma_f16 v91, v49, v65, v91
	v_pk_fma_f16 v92, v49, v75, v92
	v_pk_fma_f16 v49, v49, v66, v93
	v_pk_fma_f16 v93, v50, v73, v59
	v_pk_fma_f16 v77, v50, v65, v77
	v_pk_fma_f16 v81, v50, v75, v81
	v_pk_fma_f16 v50, v50, v66, v94
	v_pk_fma_f16 v94, v51, v73, v60
	v_pk_fma_f16 v82, v51, v65, v82
	v_pk_fma_f16 v73, v52, v73, v61
	v_pk_fma_f16 v65, v52, v65, v63
	ds_read2_b64 v[57:60], v48 offset0:64 offset1:96
	ds_read_b128 v[61:64], v40 offset:1008
	v_pk_fma_f16 v85, v51, v75, v85
	v_pk_fma_f16 v51, v51, v66, v95
	;; [unrolled: 1-line block ×3, first 2 shown]
	s_waitcnt lgkmcnt(3)
	v_mul_u32_u24_sdwa v75, v53, v46 dst_sel:DWORD dst_unused:UNUSED_PAD src0_sel:WORD_0 src1_sel:DWORD
	v_mul_u32_u24_sdwa v53, v53, v46 dst_sel:DWORD dst_unused:UNUSED_PAD src0_sel:WORD_1 src1_sel:DWORD
	v_mul_u32_u24_sdwa v95, v54, v46 dst_sel:DWORD dst_unused:UNUSED_PAD src0_sel:WORD_0 src1_sel:DWORD
	v_mul_u32_u24_sdwa v54, v54, v46 dst_sel:DWORD dst_unused:UNUSED_PAD src0_sel:WORD_1 src1_sel:DWORD
	v_pk_fma_f16 v52, v52, v66, v88
	s_waitcnt lgkmcnt(2)
	v_pk_fma_f16 v66, v5, v75, v96
	v_pk_fma_f16 v88, v5, v53, v97
	v_pk_fma_f16 v74, v5, v95, v74
	v_pk_fma_f16 v68, v5, v54, v68
	v_pk_fma_f16 v76, v6, v75, v76
	v_pk_fma_f16 v70, v6, v53, v70
	v_pk_fma_f16 v71, v6, v95, v71
	v_pk_fma_f16 v80, v6, v54, v80
	v_pk_fma_f16 v83, v7, v75, v83
	v_pk_fma_f16 v78, v7, v53, v78
	v_pk_fma_f16 v84, v7, v95, v84
	v_pk_fma_f16 v86, v7, v54, v86
	v_pk_fma_f16 v87, v8, v75, v87
	v_pk_fma_f16 v69, v8, v53, v69
	v_pk_fma_f16 v79, v8, v95, v79
	v_pk_fma_f16 v89, v8, v54, v89
	s_waitcnt lgkmcnt(1)
	v_pk_fma_f16 v90, v57, v75, v90
	v_pk_fma_f16 v91, v57, v53, v91
	ds_read2_b64 v[5:8], v48 offset0:128 offset1:160
	v_pk_fma_f16 v92, v57, v95, v92
	v_pk_fma_f16 v57, v57, v54, v49
	v_pk_fma_f16 v93, v58, v75, v93
	v_pk_fma_f16 v77, v58, v53, v77
	v_pk_fma_f16 v81, v58, v95, v81
	v_pk_fma_f16 v58, v58, v54, v50
	v_pk_fma_f16 v94, v59, v75, v94
	v_pk_fma_f16 v82, v59, v53, v82
	v_pk_fma_f16 v85, v59, v95, v85
	v_pk_fma_f16 v59, v59, v54, v51
	ds_read2_b64 v[48:51], v48 offset0:192 offset1:224
	v_pk_fma_f16 v73, v60, v75, v73
	v_pk_fma_f16 v53, v60, v53, v65
	;; [unrolled: 1-line block ×3, first 2 shown]
	v_mul_u32_u24_sdwa v67, v55, v46 dst_sel:DWORD dst_unused:UNUSED_PAD src0_sel:WORD_0 src1_sel:DWORD
	v_mul_u32_u24_sdwa v55, v55, v46 dst_sel:DWORD dst_unused:UNUSED_PAD src0_sel:WORD_1 src1_sel:DWORD
	v_mul_u32_u24_sdwa v75, v56, v46 dst_sel:DWORD dst_unused:UNUSED_PAD src0_sel:WORD_0 src1_sel:DWORD
	v_mul_u32_u24_sdwa v56, v56, v46 dst_sel:DWORD dst_unused:UNUSED_PAD src0_sel:WORD_1 src1_sel:DWORD
	v_pk_fma_f16 v60, v60, v54, v52
	s_waitcnt lgkmcnt(1)
	v_pk_fma_f16 v66, v5, v67, v66
	v_pk_fma_f16 v88, v5, v55, v88
	;; [unrolled: 1-line block ×16, first 2 shown]
	s_waitcnt lgkmcnt(0)
	v_pk_fma_f16 v90, v48, v67, v90
	v_pk_fma_f16 v91, v48, v55, v91
	ds_read2_b64 v[5:8], v47 offset1:32
	v_pk_fma_f16 v92, v48, v75, v92
	v_pk_fma_f16 v48, v48, v56, v57
	;; [unrolled: 1-line block ×12, first 2 shown]
	ds_read2_b64 v[52:55], v47 offset0:64 offset1:96
	v_pk_fma_f16 v65, v51, v75, v65
	v_mul_u32_u24_sdwa v73, v61, v46 dst_sel:DWORD dst_unused:UNUSED_PAD src0_sel:WORD_0 src1_sel:DWORD
	v_mul_u32_u24_sdwa v61, v61, v46 dst_sel:DWORD dst_unused:UNUSED_PAD src0_sel:WORD_1 src1_sel:DWORD
	v_mul_u32_u24_sdwa v75, v62, v46 dst_sel:DWORD dst_unused:UNUSED_PAD src0_sel:WORD_0 src1_sel:DWORD
	v_mul_u32_u24_sdwa v62, v62, v46 dst_sel:DWORD dst_unused:UNUSED_PAD src0_sel:WORD_1 src1_sel:DWORD
	v_pk_fma_f16 v51, v51, v56, v60
	s_waitcnt lgkmcnt(1)
	v_pk_fma_f16 v56, v5, v73, v66
	v_pk_fma_f16 v60, v5, v61, v88
	;; [unrolled: 1-line block ×16, first 2 shown]
	ds_read2_b64 v[5:8], v47 offset0:128 offset1:160
	s_waitcnt lgkmcnt(1)
	v_pk_fma_f16 v97, v53, v75, v81
	v_pk_fma_f16 v100, v54, v61, v82
	ds_read2_b64 v[80:83], v47 offset0:192 offset1:224
	s_waitcnt lgkmcnt(0)
	s_barrier
	buffer_gl0_inv
	s_load_dword s0, s[6:7], 0x4
	v_pk_fma_f16 v90, v52, v73, v90
	v_pk_fma_f16 v91, v52, v61, v91
	;; [unrolled: 1-line block ×14, first 2 shown]
	v_mul_u32_u24_sdwa v65, v63, v46 dst_sel:DWORD dst_unused:UNUSED_PAD src0_sel:WORD_0 src1_sel:DWORD
	v_mul_u32_u24_sdwa v106, v63, v46 dst_sel:DWORD dst_unused:UNUSED_PAD src0_sel:WORD_1 src1_sel:DWORD
	v_mul_u32_u24_sdwa v107, v64, v46 dst_sel:DWORD dst_unused:UNUSED_PAD src0_sel:WORD_0 src1_sel:DWORD
	v_mul_u32_u24_sdwa v108, v64, v46 dst_sel:DWORD dst_unused:UNUSED_PAD src0_sel:WORD_1 src1_sel:DWORD
	s_waitcnt lgkmcnt(0)
	s_lshl_b32 s0, s0, 7
	v_pk_fma_f16 v71, v5, v65, v56
	v_pk_fma_f16 v63, v5, v106, v60
	;; [unrolled: 1-line block ×32, first 2 shown]
	s_add_i32 s8, s0, s8
	s_cmp_ge_i32 s8, s34
	s_cbranch_scc1 .LBB9_23
; %bb.22:                               ;   in Loop: Header=BB9_17 Depth=1
	v_mov_b32_e32 v87, v1
	v_mov_b32_e32 v90, v2
	;; [unrolled: 1-line block ×8, first 2 shown]
	s_branch .LBB9_17
.LBB9_23:
	v_mov_b32_e32 v5, 32
	v_mov_b32_e32 v7, v34
.LBB9_24:
	v_cmp_lt_i32_e32 vcc_lo, v9, v5
	s_cmp_lg_u64 s[16:17], 0
	s_cselect_b32 s0, -1, 0
	s_cmp_eq_u32 s28, 0
	v_cndmask_b32_e32 v6, v7, v9, vcc_lo
	v_cmp_lt_i32_e32 vcc_lo, v10, v5
	s_cselect_b32 s1, -1, 0
	s_and_b32 s0, s1, s0
	v_lshlrev_b32_e32 v6, 2, v6
	v_cndmask_b32_e32 v10, v7, v10, vcc_lo
	v_cmp_lt_i32_e32 vcc_lo, v11, v5
	ds_bpermute_b32 v8, v6, v14
	ds_bpermute_b32 v9, v6, v15
	;; [unrolled: 1-line block ×4, first 2 shown]
	v_lshlrev_b32_e32 v10, 2, v10
	v_cndmask_b32_e32 v11, v7, v11, vcc_lo
	v_cmp_lt_i32_e32 vcc_lo, v12, v5
	v_lshlrev_b32_e32 v11, 2, v11
	v_cndmask_b32_e32 v12, v7, v12, vcc_lo
	v_cmp_lt_i32_e32 vcc_lo, v13, v5
	v_lshlrev_b32_e32 v12, 2, v12
	v_cndmask_b32_e32 v5, v7, v13, vcc_lo
	s_and_b32 vcc_lo, exec_lo, s0
	s_waitcnt lgkmcnt(3)
	v_add_f32_e32 v8, v14, v8
	s_waitcnt lgkmcnt(2)
	v_add_f32_e32 v9, v15, v9
	;; [unrolled: 2-line block ×4, first 2 shown]
	v_lshlrev_b32_e32 v5, 2, v5
	ds_bpermute_b32 v15, v10, v8
	ds_bpermute_b32 v16, v10, v9
	ds_bpermute_b32 v18, v10, v14
	ds_bpermute_b32 v10, v10, v6
	s_waitcnt lgkmcnt(3)
	v_add_f32_e32 v8, v8, v15
	s_waitcnt lgkmcnt(2)
	v_add_f32_e32 v9, v9, v16
	s_waitcnt lgkmcnt(1)
	v_add_f32_e32 v14, v14, v18
	s_waitcnt lgkmcnt(0)
	v_add_f32_e32 v6, v6, v10
	ds_bpermute_b32 v10, v11, v8
	ds_bpermute_b32 v15, v11, v9
	ds_bpermute_b32 v16, v11, v14
	ds_bpermute_b32 v11, v11, v6
	s_waitcnt lgkmcnt(3)
	v_add_f32_e32 v8, v8, v10
	s_waitcnt lgkmcnt(2)
	v_add_f32_e32 v9, v9, v15
	s_waitcnt lgkmcnt(1)
	v_add_f32_e32 v10, v14, v16
	s_waitcnt lgkmcnt(0)
	v_add_f32_e32 v6, v6, v11
	;; [unrolled: 12-line block ×4, first 2 shown]
	s_cbranch_vccz .LBB9_27
; %bb.25:
	s_ashr_i32 s31, s30, 31
	v_mov_b32_e32 v9, 0
	s_lshl_b64 s[0:1], s[30:31], 2
	v_max_f32_e32 v13, v1, v1
	s_add_u32 s0, s16, s0
	s_addc_u32 s1, s17, s1
	v_max_f32_e32 v14, v2, v2
	global_load_dwordx4 v[9:12], v9, s[0:1]
	v_max_f32_e32 v15, v3, v3
	v_max_f32_e32 v18, v4, v4
	v_mov_b32_e32 v22, 0x10001
	s_waitcnt vmcnt(0)
	v_max_f32_e32 v16, v9, v9
	v_max_f32_e32 v19, v10, v10
	;; [unrolled: 1-line block ×8, first 2 shown]
	v_sub_f32_e32 v18, v1, v13
	v_sub_f32_e32 v19, v2, v14
	;; [unrolled: 1-line block ×4, first 2 shown]
	v_mov_b32_e32 v1, v13
	v_sub_f32_e32 v9, v9, v13
	v_mov_b32_e32 v2, v14
	v_mov_b32_e32 v3, v15
	;; [unrolled: 1-line block ×3, first 2 shown]
	v_mul_f32_e32 v13, 0x3fb8aa3b, v18
	v_sub_f32_e32 v10, v10, v14
	v_mul_f32_e32 v14, 0x3fb8aa3b, v9
	v_sub_f32_e32 v11, v11, v15
	v_mul_f32_e32 v15, 0x3fb8aa3b, v19
	v_fma_f32 v27, 0x3fb8aa3b, v18, -v13
	v_rndne_f32_e32 v28, v13
	v_fma_f32 v29, 0x3fb8aa3b, v9, -v14
	v_rndne_f32_e32 v30, v14
	v_sub_f32_e32 v12, v12, v16
	v_fmac_f32_e32 v27, 0x32a5705f, v18
	v_sub_f32_e32 v13, v13, v28
	v_mul_f32_e32 v16, 0x3fb8aa3b, v10
	v_fma_f32 v32, 0x3fb8aa3b, v19, -v15
	v_rndne_f32_e32 v33, v15
	v_fmac_f32_e32 v29, 0x32a5705f, v9
	v_sub_f32_e32 v14, v14, v30
	v_add_f32_e32 v13, v13, v27
	v_mul_f32_e32 v23, 0x3fb8aa3b, v20
	v_fma_f32 v34, 0x3fb8aa3b, v10, -v16
	v_rndne_f32_e32 v35, v16
	v_fmac_f32_e32 v32, 0x32a5705f, v19
	v_sub_f32_e32 v15, v15, v33
	v_add_f32_e32 v14, v14, v29
	v_exp_f32_e32 v13, v13
	v_mul_f32_e32 v24, 0x3fb8aa3b, v11
	v_fma_f32 v36, 0x3fb8aa3b, v20, -v23
	v_rndne_f32_e32 v37, v23
	v_cvt_i32_f32_e32 v28, v28
	v_fmac_f32_e32 v34, 0x32a5705f, v10
	v_sub_f32_e32 v16, v16, v35
	v_add_f32_e32 v15, v15, v32
	v_exp_f32_e32 v14, v14
	v_mul_f32_e32 v25, 0x3fb8aa3b, v21
	v_fma_f32 v38, 0x3fb8aa3b, v11, -v24
	v_rndne_f32_e32 v39, v24
	v_cvt_i32_f32_e32 v30, v30
	v_fmac_f32_e32 v36, 0x32a5705f, v20
	v_sub_f32_e32 v23, v23, v37
	v_add_f32_e32 v16, v16, v34
	v_exp_f32_e32 v15, v15
	v_ldexp_f32 v13, v13, v28
	v_cmp_ngt_f32_e32 vcc_lo, 0xc2ce8ed0, v18
	v_mul_f32_e32 v26, 0x3fb8aa3b, v12
	v_fma_f32 v40, 0x3fb8aa3b, v21, -v25
	v_rndne_f32_e32 v41, v25
	v_cvt_i32_f32_e32 v33, v33
	v_fmac_f32_e32 v38, 0x32a5705f, v11
	v_sub_f32_e32 v24, v24, v39
	v_add_f32_e32 v23, v23, v36
	v_exp_f32_e32 v16, v16
	v_ldexp_f32 v14, v14, v30
	v_cndmask_b32_e32 v13, 0, v13, vcc_lo
	v_cmp_ngt_f32_e32 vcc_lo, 0xc2ce8ed0, v9
	v_fma_f32 v42, 0x3fb8aa3b, v12, -v26
	v_rndne_f32_e32 v43, v26
	v_cvt_i32_f32_e32 v35, v35
	v_fmac_f32_e32 v40, 0x32a5705f, v21
	v_sub_f32_e32 v25, v25, v41
	v_add_f32_e32 v24, v24, v38
	v_exp_f32_e32 v23, v23
	v_ldexp_f32 v15, v15, v33
	v_cndmask_b32_e32 v14, 0, v14, vcc_lo
	v_cmp_ngt_f32_e32 vcc_lo, 0xc2ce8ed0, v19
	v_cvt_i32_f32_e32 v37, v37
	v_fmac_f32_e32 v42, 0x32a5705f, v12
	v_sub_f32_e32 v26, v26, v43
	v_add_f32_e32 v25, v25, v40
	v_exp_f32_e32 v24, v24
	v_ldexp_f32 v16, v16, v35
	v_cndmask_b32_e32 v15, 0, v15, vcc_lo
	v_cmp_ngt_f32_e32 vcc_lo, 0xc2ce8ed0, v10
	v_cvt_i32_f32_e32 v39, v39
	v_add_f32_e32 v26, v26, v42
	v_exp_f32_e32 v25, v25
	v_ldexp_f32 v23, v23, v37
	v_cndmask_b32_e32 v16, 0, v16, vcc_lo
	v_cmp_ngt_f32_e32 vcc_lo, 0xc2ce8ed0, v20
	v_exp_f32_e32 v26, v26
	v_cvt_i32_f32_e32 v27, v41
	v_ldexp_f32 v24, v24, v39
	v_cvt_i32_f32_e32 v29, v43
	v_cndmask_b32_e32 v23, 0, v23, vcc_lo
	v_cmp_ngt_f32_e32 vcc_lo, 0xc2ce8ed0, v11
	v_ldexp_f32 v25, v25, v27
	v_cndmask_b32_e32 v24, 0, v24, vcc_lo
	v_cmp_ngt_f32_e32 vcc_lo, 0xc2ce8ed0, v21
	v_ldexp_f32 v26, v26, v29
	v_cndmask_b32_e32 v25, 0, v25, vcc_lo
	v_cmp_ngt_f32_e32 vcc_lo, 0xc2ce8ed0, v12
	v_cndmask_b32_e32 v26, 0, v26, vcc_lo
	v_cmp_nlt_f32_e32 vcc_lo, 0x42b17218, v18
	v_cndmask_b32_e32 v13, 0x7f800000, v13, vcc_lo
	v_cmp_nlt_f32_e32 vcc_lo, 0x42b17218, v9
	;; [unrolled: 2-line block ×3, first 2 shown]
	v_fmac_f32_e32 v9, v5, v13
	v_cndmask_b32_e32 v14, 0x7f800000, v15, vcc_lo
	v_cmp_nlt_f32_e32 vcc_lo, 0x42b17218, v10
	v_cvt_f16_f32_e32 v5, v13
	v_cndmask_b32_e32 v10, 0x7f800000, v16, vcc_lo
	v_cmp_nlt_f32_e32 vcc_lo, 0x42b17218, v20
	v_fmac_f32_e32 v10, v6, v14
	v_cndmask_b32_e32 v15, 0x7f800000, v23, vcc_lo
	v_cmp_nlt_f32_e32 vcc_lo, 0x42b17218, v11
	v_cvt_f16_f32_e32 v6, v14
	v_cndmask_b32_e32 v11, 0x7f800000, v24, vcc_lo
	v_cmp_nlt_f32_e32 vcc_lo, 0x42b17218, v21
	v_mul_u32_u24_sdwa v14, v6, v22 dst_sel:DWORD dst_unused:UNUSED_PAD src0_sel:WORD_0 src1_sel:DWORD
	v_mov_b32_e32 v6, v10
	v_fmac_f32_e32 v11, v7, v15
	v_cndmask_b32_e32 v16, 0x7f800000, v25, vcc_lo
	v_cmp_nlt_f32_e32 vcc_lo, 0x42b17218, v12
	v_cvt_f16_f32_e32 v7, v15
	v_pk_mul_f16 v63, v63, v14
	v_pk_mul_f16 v70, v70, v14
	v_cvt_f16_f32_e32 v13, v16
	v_cndmask_b32_e32 v12, 0x7f800000, v26, vcc_lo
	v_mul_u32_u24_sdwa v15, v7, v22 dst_sel:DWORD dst_unused:UNUSED_PAD src0_sel:WORD_0 src1_sel:DWORD
	v_mov_b32_e32 v7, v11
	v_pk_mul_f16 v66, v66, v14
	v_mul_u32_u24_sdwa v13, v13, v22 dst_sel:DWORD dst_unused:UNUSED_PAD src0_sel:WORD_0 src1_sel:DWORD
	v_fmac_f32_e32 v12, v8, v16
	v_mul_u32_u24_sdwa v8, v5, v22 dst_sel:DWORD dst_unused:UNUSED_PAD src0_sel:WORD_0 src1_sel:DWORD
	v_mov_b32_e32 v5, v9
	v_pk_mul_f16 v69, v69, v14
	v_pk_mul_f16 v67, v67, v14
	;; [unrolled: 1-line block ×29, first 2 shown]
	v_mov_b32_e32 v8, v12
	s_mov_b32 s0, exec_lo
	v_cmpx_gt_i32_e64 s2, v17
	s_cbranch_execnz .LBB9_28
.LBB9_26:
	s_endpgm
.LBB9_27:
	v_mov_b32_e32 v12, v8
	v_mov_b32_e32 v11, v7
	;; [unrolled: 1-line block ×4, first 2 shown]
	s_mov_b32 s0, exec_lo
	v_cmpx_gt_i32_e64 s2, v17
	s_cbranch_execz .LBB9_26
.LBB9_28:
	s_load_dword s1, s[4:5], 0xd4
	v_mov_b32_e32 v15, 1.0
	s_waitcnt lgkmcnt(0)
	s_cmp_lg_u32 s1, 1
	s_cselect_b32 s5, -1, 0
	s_cmp_eq_u32 s1, 1
	s_cselect_b32 s4, -1, 0
	s_and_b32 vcc_lo, exec_lo, s5
	s_cbranch_vccnz .LBB9_30
; %bb.29:
	v_div_scale_f32 v13, null, v5, v5, 1.0
	v_rcp_f32_e32 v14, v13
	v_fma_f32 v15, -v13, v14, 1.0
	v_fmac_f32_e32 v14, v15, v14
	v_div_scale_f32 v15, vcc_lo, 1.0, v5, 1.0
	v_mul_f32_e32 v16, v15, v14
	v_fma_f32 v18, -v13, v16, v15
	v_fmac_f32_e32 v16, v18, v14
	v_fma_f32 v13, -v13, v16, v15
	v_div_fmas_f32 v13, v13, v14, v16
	v_div_fixup_f32 v15, v13, v5, 1.0
.LBB9_30:
	v_mad_u64_u32 v[13:14], null, s29, s2, v[17:18]
	v_mov_b32_e32 v29, 0
	v_cvt_f32_f16_sdwa v21, v79 dst_sel:DWORD dst_unused:UNUSED_PAD src0_sel:WORD_1
	v_cvt_f32_f16_sdwa v24, v76 dst_sel:DWORD dst_unused:UNUSED_PAD src0_sel:WORD_1
	v_cmp_eq_u32_e32 vcc_lo, 0, v0
	v_cvt_f32_f16_sdwa v0, v78 dst_sel:DWORD dst_unused:UNUSED_PAD src0_sel:WORD_1
	v_mov_b32_e32 v25, v29
	v_mad_u64_u32 v[13:14], null, v13, s3, s[30:31]
	v_mul_f32_e32 v23, v15, v21
	v_mul_f32_e32 v21, v15, v24
	v_cvt_f32_f16_e32 v5, v78
	v_mov_b32_e32 v33, v29
	v_cvt_f32_f16_sdwa v16, v71 dst_sel:DWORD dst_unused:UNUSED_PAD src0_sel:WORD_1
	v_cvt_f32_f16_e32 v20, v71
	v_mad_u64_u32 v[13:14], null, s1, v13, s[28:29]
	v_cvt_f32_f16_e32 v14, v76
	v_cvt_f32_f16_sdwa v30, v77 dst_sel:DWORD dst_unused:UNUSED_PAD src0_sel:WORD_1
	v_mul_f32_e32 v19, v15, v0
	v_mul_f32_e32 v18, v15, v5
	v_cvt_f32_f16_sdwa v0, v75 dst_sel:DWORD dst_unused:UNUSED_PAD src0_sel:WORD_1
	v_cvt_f32_f16_e32 v5, v75
	v_lshl_add_u32 v28, v13, 9, v31
	v_cvt_f32_f16_e32 v22, v79
	v_mul_f32_e32 v17, v15, v16
	v_mul_f32_e32 v16, v15, v20
	;; [unrolled: 1-line block ×3, first 2 shown]
	v_add_nc_u32_e32 v24, 0x80, v28
	v_lshlrev_b64 v[26:27], 2, v[28:29]
	v_add_nc_u32_e32 v32, 0x100, v28
	v_add_nc_u32_e32 v28, 0x180, v28
	v_cvt_f32_f16_sdwa v14, v73 dst_sel:DWORD dst_unused:UNUSED_PAD src0_sel:WORD_1
	v_lshlrev_b64 v[24:25], 2, v[24:25]
	v_cvt_f32_f16_e32 v34, v77
	v_lshlrev_b64 v[32:33], 2, v[32:33]
	v_add_co_u32 v36, s0, s20, v26
	v_lshlrev_b64 v[28:29], 2, v[28:29]
	v_add_co_ci_u32_e64 v37, null, s21, v27, s0
	v_add_co_u32 v38, s0, s20, v24
	v_add_co_ci_u32_e64 v39, null, s21, v25, s0
	v_mul_f32_e32 v27, v15, v30
	v_mul_f32_e32 v25, v15, v0
	;; [unrolled: 1-line block ×3, first 2 shown]
	v_cvt_f32_f16_sdwa v0, v74 dst_sel:DWORD dst_unused:UNUSED_PAD src0_sel:WORD_1
	v_cvt_f32_f16_e32 v5, v74
	v_cvt_f32_f16_e32 v30, v73
	v_add_co_u32 v40, s0, s20, v32
	v_mul_f32_e32 v22, v15, v22
	v_add_co_ci_u32_e64 v41, null, s21, v33, s0
	v_mul_f32_e32 v33, v15, v14
	v_add_co_u32 v14, s0, s20, v28
	v_mul_f32_e32 v26, v15, v34
	v_mul_f32_e32 v35, v15, v0
	;; [unrolled: 1-line block ×4, first 2 shown]
	v_add_co_ci_u32_e64 v15, null, s21, v29, s0
	s_and_b32 s0, vcc_lo, s5
	global_store_dwordx4 v[36:37], v[16:19], off
	global_store_dwordx4 v[38:39], v[20:23], off
	;; [unrolled: 1-line block ×4, first 2 shown]
	s_and_saveexec_b32 s2, s0
	s_cbranch_execz .LBB9_32
; %bb.31:
	v_ashrrev_i32_e32 v14, 31, v13
	v_mov_b32_e32 v0, v1
	v_mov_b32_e32 v1, v9
	v_lshlrev_b64 v[14:15], 3, v[13:14]
	v_add_co_u32 v14, vcc_lo, s22, v14
	v_add_co_ci_u32_e64 v15, null, s23, v15, vcc_lo
	global_store_dwordx2 v[14:15], v[0:1], off
.LBB9_32:
	s_or_b32 exec_lo, exec_lo, s2
	v_cndmask_b32_e64 v5, 0, 1, s4
	v_mov_b32_e32 v1, 1.0
	s_andn2_b32 vcc_lo, exec_lo, s4
	s_cbranch_vccnz .LBB9_34
; %bb.33:
	v_div_scale_f32 v0, null, v6, v6, 1.0
	v_rcp_f32_e32 v1, v0
	v_fma_f32 v9, -v0, v1, 1.0
	v_fmac_f32_e32 v1, v9, v1
	v_div_scale_f32 v9, vcc_lo, 1.0, v6, 1.0
	v_mul_f32_e32 v14, v9, v1
	v_fma_f32 v15, -v0, v14, v9
	v_fmac_f32_e32 v14, v15, v1
	v_fma_f32 v0, -v0, v14, v9
	v_div_fmas_f32 v0, v0, v1, v14
	v_div_fixup_f32 v1, v0, v6, 1.0
.LBB9_34:
	v_add_nc_u32_e32 v0, s1, v13
	v_mov_b32_e32 v26, 0
	v_cvt_f32_f16_sdwa v13, v63 dst_sel:DWORD dst_unused:UNUSED_PAD src0_sel:WORD_1
	v_cvt_f32_f16_e32 v19, v63
	v_cvt_f32_f16_sdwa v6, v70 dst_sel:DWORD dst_unused:UNUSED_PAD src0_sel:WORD_1
	v_lshl_add_u32 v25, v0, 9, v31
	v_mov_b32_e32 v20, v26
	v_mul_f32_e32 v14, v1, v13
	v_mul_f32_e32 v13, v1, v19
	v_cvt_f32_f16_e32 v9, v70
	v_add_nc_u32_e32 v19, 0x80, v25
	v_lshlrev_b64 v[17:18], 2, v[25:26]
	v_mul_f32_e32 v16, v1, v6
	v_cvt_f32_f16_sdwa v6, v69 dst_sel:DWORD dst_unused:UNUSED_PAD src0_sel:WORD_1
	v_mul_f32_e32 v15, v1, v9
	v_lshlrev_b64 v[21:22], 2, v[19:20]
	v_cvt_f32_f16_e32 v9, v69
	v_add_co_u32 v29, vcc_lo, s20, v17
	v_add_co_ci_u32_e64 v30, null, s21, v18, vcc_lo
	v_add_co_u32 v32, vcc_lo, s20, v21
	v_add_co_ci_u32_e64 v33, null, s21, v22, vcc_lo
	v_add_nc_u32_e32 v21, 0x100, v25
	v_mov_b32_e32 v22, v26
	v_add_nc_u32_e32 v25, 0x180, v25
	v_cvt_f32_f16_sdwa v17, v66 dst_sel:DWORD dst_unused:UNUSED_PAD src0_sel:WORD_1
	v_cvt_f32_f16_e32 v23, v66
	v_mul_f32_e32 v20, v1, v6
	v_mul_f32_e32 v19, v1, v9
	v_cvt_f32_f16_sdwa v6, v68 dst_sel:DWORD dst_unused:UNUSED_PAD src0_sel:WORD_1
	v_cvt_f32_f16_e32 v9, v68
	v_lshlrev_b64 v[27:28], 2, v[21:22]
	v_cvt_f32_f16_sdwa v34, v67 dst_sel:DWORD dst_unused:UNUSED_PAD src0_sel:WORD_1
	v_lshlrev_b64 v[36:37], 2, v[25:26]
	v_cvt_f32_f16_e32 v35, v67
	v_mul_f32_e32 v18, v1, v17
	v_mul_f32_e32 v17, v1, v23
	;; [unrolled: 1-line block ×4, first 2 shown]
	v_cvt_f32_f16_sdwa v6, v65 dst_sel:DWORD dst_unused:UNUSED_PAD src0_sel:WORD_1
	v_cvt_f32_f16_e32 v9, v65
	v_cvt_f32_f16_sdwa v38, v64 dst_sel:DWORD dst_unused:UNUSED_PAD src0_sel:WORD_1
	v_cvt_f32_f16_e32 v39, v64
	v_mul_f32_e32 v22, v1, v34
	v_add_co_u32 v34, vcc_lo, s20, v27
	v_mul_f32_e32 v21, v1, v35
	v_add_co_ci_u32_e64 v35, null, s21, v28, vcc_lo
	v_add_co_u32 v36, vcc_lo, s20, v36
	v_mul_f32_e32 v28, v1, v6
	v_mul_f32_e32 v27, v1, v9
	;; [unrolled: 1-line block ×4, first 2 shown]
	v_add_co_ci_u32_e64 v37, null, s21, v37, vcc_lo
	global_store_dwordx4 v[29:30], v[13:16], off
	global_store_dwordx4 v[32:33], v[17:20], off
	;; [unrolled: 1-line block ×4, first 2 shown]
	s_and_saveexec_b32 s2, s0
	s_cbranch_execz .LBB9_36
; %bb.35:
	v_ashrrev_i32_e32 v1, 31, v0
	v_mov_b32_e32 v9, v2
	v_lshlrev_b64 v[13:14], 3, v[0:1]
	v_add_co_u32 v13, vcc_lo, s22, v13
	v_add_co_ci_u32_e64 v14, null, s23, v14, vcc_lo
	global_store_dwordx2 v[13:14], v[9:10], off
.LBB9_36:
	s_or_b32 exec_lo, exec_lo, s2
	v_cmp_ne_u32_e32 vcc_lo, 1, v5
	v_mov_b32_e32 v1, 1.0
	s_cbranch_vccnz .LBB9_38
; %bb.37:
	v_div_scale_f32 v1, null, v7, v7, 1.0
	v_rcp_f32_e32 v2, v1
	v_fma_f32 v6, -v1, v2, 1.0
	v_fmac_f32_e32 v2, v6, v2
	v_div_scale_f32 v6, vcc_lo, 1.0, v7, 1.0
	v_mul_f32_e32 v9, v6, v2
	v_fma_f32 v10, -v1, v9, v6
	v_fmac_f32_e32 v9, v10, v2
	v_fma_f32 v1, -v1, v9, v6
	v_div_fmas_f32 v1, v1, v2, v9
	v_div_fixup_f32 v1, v1, v7, 1.0
.LBB9_38:
	v_add_nc_u32_e32 v0, s1, v0
	v_mov_b32_e32 v7, 0
	v_cvt_f32_f16_e32 v13, v62
	v_cvt_f32_f16_e32 v17, v55
	v_cvt_f32_f16_sdwa v2, v62 dst_sel:DWORD dst_unused:UNUSED_PAD src0_sel:WORD_1
	v_lshl_add_u32 v6, v0, 9, v31
	v_mov_b32_e32 v18, v7
	v_mul_f32_e32 v15, v1, v13
	v_mul_f32_e32 v13, v1, v17
	v_mul_f32_e32 v16, v1, v2
	v_add_nc_u32_e32 v17, 0x80, v6
	v_lshlrev_b64 v[9:10], 2, v[6:7]
	v_cvt_f32_f16_sdwa v2, v61 dst_sel:DWORD dst_unused:UNUSED_PAD src0_sel:WORD_1
	v_cvt_f32_f16_sdwa v23, v58 dst_sel:DWORD dst_unused:UNUSED_PAD src0_sel:WORD_1
	v_cvt_f32_f16_e32 v24, v58
	v_lshlrev_b64 v[21:22], 2, v[17:18]
	v_cvt_f32_f16_sdwa v14, v55 dst_sel:DWORD dst_unused:UNUSED_PAD src0_sel:WORD_1
	v_add_co_u32 v9, vcc_lo, s20, v9
	v_add_co_ci_u32_e64 v10, null, s21, v10, vcc_lo
	v_add_co_u32 v29, vcc_lo, s20, v21
	v_add_co_ci_u32_e64 v30, null, s21, v22, vcc_lo
	v_add_nc_u32_e32 v21, 0x100, v6
	v_mov_b32_e32 v22, v7
	v_add_nc_u32_e32 v6, 0x180, v6
	v_mul_f32_e32 v20, v1, v2
	v_cvt_f32_f16_sdwa v2, v60 dst_sel:DWORD dst_unused:UNUSED_PAD src0_sel:WORD_1
	v_cvt_f32_f16_e32 v19, v61
	v_lshlrev_b64 v[25:26], 2, v[21:22]
	v_lshlrev_b64 v[6:7], 2, v[6:7]
	v_mul_f32_e32 v18, v1, v23
	v_mul_f32_e32 v17, v1, v24
	v_cvt_f32_f16_e32 v23, v60
	v_cvt_f32_f16_sdwa v27, v59 dst_sel:DWORD dst_unused:UNUSED_PAD src0_sel:WORD_1
	v_add_co_u32 v32, vcc_lo, s20, v25
	v_cvt_f32_f16_e32 v28, v59
	v_mul_f32_e32 v24, v1, v2
	v_add_co_ci_u32_e64 v33, null, s21, v26, vcc_lo
	v_cvt_f32_f16_sdwa v2, v57 dst_sel:DWORD dst_unused:UNUSED_PAD src0_sel:WORD_1
	v_cvt_f32_f16_e32 v25, v57
	v_cvt_f32_f16_sdwa v26, v56 dst_sel:DWORD dst_unused:UNUSED_PAD src0_sel:WORD_1
	v_cvt_f32_f16_e32 v34, v56
	v_mul_f32_e32 v14, v1, v14
	v_mul_f32_e32 v19, v1, v19
	;; [unrolled: 1-line block ×9, first 2 shown]
	v_add_co_u32 v1, vcc_lo, s20, v6
	v_add_co_ci_u32_e64 v2, null, s21, v7, vcc_lo
	global_store_dwordx4 v[9:10], v[13:16], off
	global_store_dwordx4 v[29:30], v[17:20], off
	;; [unrolled: 1-line block ×4, first 2 shown]
	s_and_saveexec_b32 s2, s0
	s_cbranch_execz .LBB9_40
; %bb.39:
	v_ashrrev_i32_e32 v1, 31, v0
	v_mov_b32_e32 v10, v3
	v_lshlrev_b64 v[1:2], 3, v[0:1]
	v_add_co_u32 v1, vcc_lo, s22, v1
	v_add_co_ci_u32_e64 v2, null, s23, v2, vcc_lo
	global_store_dwordx2 v[1:2], v[10:11], off
.LBB9_40:
	s_or_b32 exec_lo, exec_lo, s2
	v_cmp_ne_u32_e32 vcc_lo, 1, v5
	v_mov_b32_e32 v1, 1.0
	s_cbranch_vccnz .LBB9_42
; %bb.41:
	v_div_scale_f32 v1, null, v8, v8, 1.0
	v_rcp_f32_e32 v2, v1
	v_fma_f32 v3, -v1, v2, 1.0
	v_fmac_f32_e32 v2, v3, v2
	v_div_scale_f32 v3, vcc_lo, 1.0, v8, 1.0
	v_mul_f32_e32 v5, v3, v2
	v_fma_f32 v6, -v1, v5, v3
	v_fmac_f32_e32 v5, v6, v2
	v_fma_f32 v1, -v1, v5, v3
	v_div_fmas_f32 v1, v1, v2, v5
	v_div_fixup_f32 v1, v1, v8, 1.0
.LBB9_42:
	v_add_nc_u32_e32 v0, s1, v0
	v_cvt_f32_f16_sdwa v5, v53 dst_sel:DWORD dst_unused:UNUSED_PAD src0_sel:WORD_1
	v_mov_b32_e32 v3, 0
	v_cvt_f32_f16_e32 v13, v54
	v_cvt_f32_f16_e32 v6, v53
	v_lshl_add_u32 v2, v0, 9, v31
	v_mul_f32_e32 v8, v1, v5
	v_mov_b32_e32 v14, v3
	v_mul_f32_e32 v5, v1, v13
	v_cvt_f32_f16_sdwa v11, v54 dst_sel:DWORD dst_unused:UNUSED_PAD src0_sel:WORD_1
	v_add_nc_u32_e32 v13, 0x80, v2
	v_lshlrev_b64 v[9:10], 2, v[2:3]
	v_mul_f32_e32 v7, v1, v6
	v_cvt_f32_f16_sdwa v19, v49 dst_sel:DWORD dst_unused:UNUSED_PAD src0_sel:WORD_1
	v_mul_f32_e32 v6, v1, v11
	v_lshlrev_b64 v[17:18], 2, v[13:14]
	v_cvt_f32_f16_sdwa v11, v52 dst_sel:DWORD dst_unused:UNUSED_PAD src0_sel:WORD_1
	v_add_co_u32 v9, vcc_lo, s20, v9
	v_add_co_ci_u32_e64 v10, null, s21, v10, vcc_lo
	v_add_co_u32 v25, vcc_lo, s20, v17
	v_add_co_ci_u32_e64 v26, null, s21, v18, vcc_lo
	v_add_nc_u32_e32 v17, 0x100, v2
	v_mov_b32_e32 v18, v3
	v_add_nc_u32_e32 v2, 0x180, v2
	v_cvt_f32_f16_e32 v20, v49
	v_mul_f32_e32 v16, v1, v11
	v_cvt_f32_f16_sdwa v11, v51 dst_sel:DWORD dst_unused:UNUSED_PAD src0_sel:WORD_1
	v_lshlrev_b64 v[21:22], 2, v[17:18]
	v_lshlrev_b64 v[2:3], 2, v[2:3]
	v_cvt_f32_f16_e32 v15, v52
	v_mul_f32_e32 v14, v1, v19
	v_mul_f32_e32 v13, v1, v20
	v_cvt_f32_f16_e32 v19, v51
	v_add_co_u32 v27, vcc_lo, s20, v21
	v_cvt_f32_f16_sdwa v23, v50 dst_sel:DWORD dst_unused:UNUSED_PAD src0_sel:WORD_1
	v_cvt_f32_f16_e32 v24, v50
	v_mul_f32_e32 v20, v1, v11
	v_add_co_ci_u32_e64 v28, null, s21, v22, vcc_lo
	v_cvt_f32_f16_sdwa v11, v47 dst_sel:DWORD dst_unused:UNUSED_PAD src0_sel:WORD_1
	v_cvt_f32_f16_e32 v21, v47
	v_cvt_f32_f16_sdwa v22, v48 dst_sel:DWORD dst_unused:UNUSED_PAD src0_sel:WORD_1
	v_cvt_f32_f16_e32 v29, v48
	v_mul_f32_e32 v15, v1, v15
	v_mul_f32_e32 v19, v1, v19
	;; [unrolled: 1-line block ×8, first 2 shown]
	v_add_co_u32 v1, vcc_lo, s20, v2
	v_add_co_ci_u32_e64 v2, null, s21, v3, vcc_lo
	global_store_dwordx4 v[9:10], v[5:8], off
	global_store_dwordx4 v[25:26], v[13:16], off
	;; [unrolled: 1-line block ×4, first 2 shown]
	s_and_b32 exec_lo, exec_lo, s0
	s_cbranch_execz .LBB9_26
; %bb.43:
	v_ashrrev_i32_e32 v1, 31, v0
	v_mov_b32_e32 v11, v4
	v_lshlrev_b64 v[0:1], 3, v[0:1]
	v_add_co_u32 v0, vcc_lo, s22, v0
	v_add_co_ci_u32_e64 v1, null, s23, v1, vcc_lo
	global_store_dwordx2 v[0:1], v[11:12], off
	s_endpgm
	.section	.rodata,"a",@progbits
	.p2align	6, 0x0
	.amdhsa_kernel _ZL15flash_attn_tileILi576ELi512ELi8ELi4ELb0EEvPKcS1_S1_S1_S1_PKiPfP15HIP_vector_typeIfLj2EEffffjfiS5_IjLj3EEiiiiiiiiiiiliiliiiiil
		.amdhsa_group_segment_fixed_size 63488
		.amdhsa_private_segment_fixed_size 0
		.amdhsa_kernarg_size 464
		.amdhsa_user_sgpr_count 6
		.amdhsa_user_sgpr_private_segment_buffer 1
		.amdhsa_user_sgpr_dispatch_ptr 0
		.amdhsa_user_sgpr_queue_ptr 0
		.amdhsa_user_sgpr_kernarg_segment_ptr 1
		.amdhsa_user_sgpr_dispatch_id 0
		.amdhsa_user_sgpr_flat_scratch_init 0
		.amdhsa_user_sgpr_private_segment_size 0
		.amdhsa_wavefront_size32 1
		.amdhsa_uses_dynamic_stack 0
		.amdhsa_system_sgpr_private_segment_wavefront_offset 0
		.amdhsa_system_sgpr_workgroup_id_x 1
		.amdhsa_system_sgpr_workgroup_id_y 1
		.amdhsa_system_sgpr_workgroup_id_z 1
		.amdhsa_system_sgpr_workgroup_info 0
		.amdhsa_system_vgpr_workitem_id 1
		.amdhsa_next_free_vgpr 201
		.amdhsa_next_free_sgpr 41
		.amdhsa_reserve_vcc 1
		.amdhsa_reserve_flat_scratch 0
		.amdhsa_float_round_mode_32 0
		.amdhsa_float_round_mode_16_64 0
		.amdhsa_float_denorm_mode_32 3
		.amdhsa_float_denorm_mode_16_64 3
		.amdhsa_dx10_clamp 1
		.amdhsa_ieee_mode 1
		.amdhsa_fp16_overflow 0
		.amdhsa_workgroup_processor_mode 1
		.amdhsa_memory_ordered 1
		.amdhsa_forward_progress 1
		.amdhsa_shared_vgpr_count 0
		.amdhsa_exception_fp_ieee_invalid_op 0
		.amdhsa_exception_fp_denorm_src 0
		.amdhsa_exception_fp_ieee_div_zero 0
		.amdhsa_exception_fp_ieee_overflow 0
		.amdhsa_exception_fp_ieee_underflow 0
		.amdhsa_exception_fp_ieee_inexact 0
		.amdhsa_exception_int_div_zero 0
	.end_amdhsa_kernel
	.section	.text._ZL15flash_attn_tileILi576ELi512ELi8ELi4ELb0EEvPKcS1_S1_S1_S1_PKiPfP15HIP_vector_typeIfLj2EEffffjfiS5_IjLj3EEiiiiiiiiiiiliiliiiiil,"axG",@progbits,_ZL15flash_attn_tileILi576ELi512ELi8ELi4ELb0EEvPKcS1_S1_S1_S1_PKiPfP15HIP_vector_typeIfLj2EEffffjfiS5_IjLj3EEiiiiiiiiiiiliiliiiiil,comdat
.Lfunc_end9:
	.size	_ZL15flash_attn_tileILi576ELi512ELi8ELi4ELb0EEvPKcS1_S1_S1_S1_PKiPfP15HIP_vector_typeIfLj2EEffffjfiS5_IjLj3EEiiiiiiiiiiiliiliiiiil, .Lfunc_end9-_ZL15flash_attn_tileILi576ELi512ELi8ELi4ELb0EEvPKcS1_S1_S1_S1_PKiPfP15HIP_vector_typeIfLj2EEffffjfiS5_IjLj3EEiiiiiiiiiiiliiliiiiil
                                        ; -- End function
	.set _ZL15flash_attn_tileILi576ELi512ELi8ELi4ELb0EEvPKcS1_S1_S1_S1_PKiPfP15HIP_vector_typeIfLj2EEffffjfiS5_IjLj3EEiiiiiiiiiiiliiliiiiil.num_vgpr, 201
	.set _ZL15flash_attn_tileILi576ELi512ELi8ELi4ELb0EEvPKcS1_S1_S1_S1_PKiPfP15HIP_vector_typeIfLj2EEffffjfiS5_IjLj3EEiiiiiiiiiiiliiliiiiil.num_agpr, 0
	.set _ZL15flash_attn_tileILi576ELi512ELi8ELi4ELb0EEvPKcS1_S1_S1_S1_PKiPfP15HIP_vector_typeIfLj2EEffffjfiS5_IjLj3EEiiiiiiiiiiiliiliiiiil.numbered_sgpr, 41
	.set _ZL15flash_attn_tileILi576ELi512ELi8ELi4ELb0EEvPKcS1_S1_S1_S1_PKiPfP15HIP_vector_typeIfLj2EEffffjfiS5_IjLj3EEiiiiiiiiiiiliiliiiiil.num_named_barrier, 0
	.set _ZL15flash_attn_tileILi576ELi512ELi8ELi4ELb0EEvPKcS1_S1_S1_S1_PKiPfP15HIP_vector_typeIfLj2EEffffjfiS5_IjLj3EEiiiiiiiiiiiliiliiiiil.private_seg_size, 0
	.set _ZL15flash_attn_tileILi576ELi512ELi8ELi4ELb0EEvPKcS1_S1_S1_S1_PKiPfP15HIP_vector_typeIfLj2EEffffjfiS5_IjLj3EEiiiiiiiiiiiliiliiiiil.uses_vcc, 1
	.set _ZL15flash_attn_tileILi576ELi512ELi8ELi4ELb0EEvPKcS1_S1_S1_S1_PKiPfP15HIP_vector_typeIfLj2EEffffjfiS5_IjLj3EEiiiiiiiiiiiliiliiiiil.uses_flat_scratch, 0
	.set _ZL15flash_attn_tileILi576ELi512ELi8ELi4ELb0EEvPKcS1_S1_S1_S1_PKiPfP15HIP_vector_typeIfLj2EEffffjfiS5_IjLj3EEiiiiiiiiiiiliiliiiiil.has_dyn_sized_stack, 0
	.set _ZL15flash_attn_tileILi576ELi512ELi8ELi4ELb0EEvPKcS1_S1_S1_S1_PKiPfP15HIP_vector_typeIfLj2EEffffjfiS5_IjLj3EEiiiiiiiiiiiliiliiiiil.has_recursion, 0
	.set _ZL15flash_attn_tileILi576ELi512ELi8ELi4ELb0EEvPKcS1_S1_S1_S1_PKiPfP15HIP_vector_typeIfLj2EEffffjfiS5_IjLj3EEiiiiiiiiiiiliiliiiiil.has_indirect_call, 0
	.section	.AMDGPU.csdata,"",@progbits
; Kernel info:
; codeLenInByte = 86028
; TotalNumSgprs: 43
; NumVgprs: 201
; ScratchSize: 0
; MemoryBound: 0
; FloatMode: 240
; IeeeMode: 1
; LDSByteSize: 63488 bytes/workgroup (compile time only)
; SGPRBlocks: 0
; VGPRBlocks: 25
; NumSGPRsForWavesPerEU: 43
; NumVGPRsForWavesPerEU: 201
; Occupancy: 4
; WaveLimiterHint : 1
; COMPUTE_PGM_RSRC2:SCRATCH_EN: 0
; COMPUTE_PGM_RSRC2:USER_SGPR: 6
; COMPUTE_PGM_RSRC2:TRAP_HANDLER: 0
; COMPUTE_PGM_RSRC2:TGID_X_EN: 1
; COMPUTE_PGM_RSRC2:TGID_Y_EN: 1
; COMPUTE_PGM_RSRC2:TGID_Z_EN: 1
; COMPUTE_PGM_RSRC2:TIDIG_COMP_CNT: 1
	.section	.text._ZL25flash_attn_mask_to_KV_maxILi8EEvPK7__half2Piiii,"axG",@progbits,_ZL25flash_attn_mask_to_KV_maxILi8EEvPK7__half2Piiii,comdat
	.globl	_ZL25flash_attn_mask_to_KV_maxILi8EEvPK7__half2Piiii ; -- Begin function _ZL25flash_attn_mask_to_KV_maxILi8EEvPK7__half2Piiii
	.p2align	8
	.type	_ZL25flash_attn_mask_to_KV_maxILi8EEvPK7__half2Piiii,@function
_ZL25flash_attn_mask_to_KV_maxILi8EEvPK7__half2Piiii: ; @_ZL25flash_attn_mask_to_KV_maxILi8EEvPK7__half2Piiii
; %bb.0:
	s_load_dwordx4 s[8:11], s[4:5], 0x0
	s_mov_b32 s0, exec_lo
	v_cmpx_gt_u32_e32 32, v0
; %bb.1:
	v_lshlrev_b32_e32 v1, 2, v0
	v_mov_b32_e32 v2, 1
	ds_write_b32 v1, v2
; %bb.2:
	s_or_b32 exec_lo, exec_lo, s0
	s_clause 0x1
	s_load_dwordx4 s[12:15], s[4:5], 0x10
	s_load_dword s1, s[4:5], 0x20
	v_and_b32_e32 v1, 31, v0
	v_lshrrev_b32_e32 v5, 3, v0
	v_mov_b32_e32 v2, 0
	v_mov_b32_e32 v6, 0x204
	s_waitcnt lgkmcnt(0)
	v_lshlrev_b32_e32 v7, 2, v1
	s_barrier
	buffer_gl0_inv
	s_mul_i32 s0, s6, s13
	s_mul_i32 s2, s14, s7
	s_lshl_b32 s0, s0, 3
	s_add_i32 s2, s2, s0
	v_cmp_eq_u32_e64 s0, 0, v1
	s_ashr_i32 s3, s2, 31
	s_lshl_b64 s[4:5], s[2:3], 2
	s_add_u32 s3, s8, s4
	s_addc_u32 s4, s9, s5
	s_lshl_b32 s5, s12, 8
	s_branch .LBB10_4
.LBB10_3:                               ;   in Loop: Header=BB10_4 Depth=1
	s_or_b32 exec_lo, exec_lo, s8
	s_waitcnt lgkmcnt(0)
	s_barrier
	buffer_gl0_inv
	ds_read_b32 v1, v7
	s_waitcnt lgkmcnt(0)
	s_barrier
	buffer_gl0_inv
	v_cmp_ne_u32_e32 vcc_lo, 0, v1
	s_cmp_lg_u32 vcc_lo, exec_lo
	s_cselect_b32 s8, -1, 0
	s_and_b32 vcc_lo, exec_lo, s8
	s_cbranch_vccnz .LBB10_36
.LBB10_4:                               ; =>This Inner Loop Header: Depth=1
	s_mov_b32 s2, s5
	s_addk_i32 s5, 0xff00
	s_cmp_lt_i32 s5, 0
	s_cbranch_scc1 .LBB10_35
; %bb.5:                                ;   in Loop: Header=BB10_4 Depth=1
	s_lshr_b32 s8, s5, 1
	v_add_nc_u32_e32 v1, s8, v0
	v_lshlrev_b64 v[3:4], 2, v[1:2]
	v_add_co_u32 v3, vcc_lo, s3, v3
	v_add_co_ci_u32_e64 v4, null, s4, v4, vcc_lo
	global_load_dword v3, v[3:4], off
	s_waitcnt vmcnt(0)
	v_cmp_class_f16_e64 s8, v3, 0x204
	v_cmp_class_f16_sdwa s9, v3, v6 src0_sel:WORD_1 src1_sel:DWORD
	s_and_b32 s12, s8, s9
	s_mov_b32 s9, 0
	s_and_saveexec_b32 s8, s12
	s_cbranch_execz .LBB10_33
; %bb.6:                                ;   in Loop: Header=BB10_4 Depth=1
	v_add_nc_u32_e32 v3, s13, v1
	s_mov_b32 s12, 0
	v_ashrrev_i32_e32 v4, 31, v3
	v_lshlrev_b64 v[8:9], 2, v[3:4]
	v_add_co_u32 v8, vcc_lo, s3, v8
	v_add_co_ci_u32_e64 v9, null, s4, v9, vcc_lo
	global_load_dword v1, v[8:9], off
	s_waitcnt vmcnt(0)
	v_cmp_class_f16_e64 s14, v1, 0x204
	s_and_saveexec_b32 s9, s14
	s_cbranch_execz .LBB10_32
; %bb.7:                                ;   in Loop: Header=BB10_4 Depth=1
	v_cmp_class_f16_sdwa s15, v1, v6 src0_sel:WORD_1 src1_sel:DWORD
	s_mov_b32 s14, 0
	s_and_saveexec_b32 s12, s15
	s_cbranch_execz .LBB10_31
; %bb.8:                                ;   in Loop: Header=BB10_4 Depth=1
	v_add_nc_u32_e32 v3, s13, v3
	s_mov_b32 s15, 0
	v_ashrrev_i32_e32 v4, 31, v3
	v_lshlrev_b64 v[8:9], 2, v[3:4]
	v_add_co_u32 v8, vcc_lo, s3, v8
	v_add_co_ci_u32_e64 v9, null, s4, v9, vcc_lo
	global_load_dword v1, v[8:9], off
	s_waitcnt vmcnt(0)
	v_cmp_class_f16_e64 s16, v1, 0x204
	s_and_saveexec_b32 s14, s16
	s_cbranch_execz .LBB10_30
; %bb.9:                                ;   in Loop: Header=BB10_4 Depth=1
	v_cmp_class_f16_sdwa s17, v1, v6 src0_sel:WORD_1 src1_sel:DWORD
	s_mov_b32 s16, 0
	s_and_saveexec_b32 s15, s17
	s_cbranch_execz .LBB10_29
; %bb.10:                               ;   in Loop: Header=BB10_4 Depth=1
	v_add_nc_u32_e32 v3, s13, v3
	s_mov_b32 s17, 0
	v_ashrrev_i32_e32 v4, 31, v3
	v_lshlrev_b64 v[8:9], 2, v[3:4]
	v_add_co_u32 v8, vcc_lo, s3, v8
	v_add_co_ci_u32_e64 v9, null, s4, v9, vcc_lo
	global_load_dword v1, v[8:9], off
	s_waitcnt vmcnt(0)
	v_cmp_class_f16_e64 s18, v1, 0x204
	s_and_saveexec_b32 s16, s18
	s_cbranch_execz .LBB10_28
; %bb.11:                               ;   in Loop: Header=BB10_4 Depth=1
	v_cmp_class_f16_sdwa s19, v1, v6 src0_sel:WORD_1 src1_sel:DWORD
	s_mov_b32 s18, 0
	s_and_saveexec_b32 s17, s19
	s_cbranch_execz .LBB10_27
; %bb.12:                               ;   in Loop: Header=BB10_4 Depth=1
	v_add_nc_u32_e32 v3, s13, v3
	s_mov_b32 s19, 0
	v_ashrrev_i32_e32 v4, 31, v3
	v_lshlrev_b64 v[8:9], 2, v[3:4]
	v_add_co_u32 v8, vcc_lo, s3, v8
	v_add_co_ci_u32_e64 v9, null, s4, v9, vcc_lo
	global_load_dword v1, v[8:9], off
	s_waitcnt vmcnt(0)
	v_cmp_class_f16_e64 s20, v1, 0x204
	s_and_saveexec_b32 s18, s20
	s_cbranch_execz .LBB10_26
; %bb.13:                               ;   in Loop: Header=BB10_4 Depth=1
	;; [unrolled: 17-line block ×4, first 2 shown]
	v_cmp_class_f16_sdwa s25, v1, v6 src0_sel:WORD_1 src1_sel:DWORD
	s_mov_b32 s24, 0
	s_and_saveexec_b32 s23, s25
	s_cbranch_execz .LBB10_21
; %bb.18:                               ;   in Loop: Header=BB10_4 Depth=1
	v_add_nc_u32_e32 v3, s13, v3
	v_ashrrev_i32_e32 v4, 31, v3
	v_lshlrev_b64 v[3:4], 2, v[3:4]
	v_add_co_u32 v3, vcc_lo, s3, v3
	v_add_co_ci_u32_e64 v4, null, s4, v4, vcc_lo
	global_load_dword v1, v[3:4], off
	s_waitcnt vmcnt(0)
	v_cmp_class_f16_e64 s26, v1, 0x204
	s_and_saveexec_b32 s25, s26
; %bb.19:                               ;   in Loop: Header=BB10_4 Depth=1
	v_cmp_class_f16_sdwa s24, v1, v6 src0_sel:WORD_1 src1_sel:DWORD
	s_and_b32 s24, s24, exec_lo
; %bb.20:                               ;   in Loop: Header=BB10_4 Depth=1
	s_or_b32 exec_lo, exec_lo, s25
	s_and_b32 s24, s24, exec_lo
.LBB10_21:                              ;   in Loop: Header=BB10_4 Depth=1
	s_or_b32 exec_lo, exec_lo, s23
	s_and_b32 s23, s24, exec_lo
.LBB10_22:                              ;   in Loop: Header=BB10_4 Depth=1
	s_or_b32 exec_lo, exec_lo, s22
	s_and_b32 s22, s23, exec_lo
.LBB10_23:                              ;   in Loop: Header=BB10_4 Depth=1
	s_or_b32 exec_lo, exec_lo, s21
	s_and_b32 s21, s22, exec_lo
.LBB10_24:                              ;   in Loop: Header=BB10_4 Depth=1
	s_or_b32 exec_lo, exec_lo, s20
	s_and_b32 s20, s21, exec_lo
.LBB10_25:                              ;   in Loop: Header=BB10_4 Depth=1
	s_or_b32 exec_lo, exec_lo, s19
	s_and_b32 s19, s20, exec_lo
.LBB10_26:                              ;   in Loop: Header=BB10_4 Depth=1
	s_or_b32 exec_lo, exec_lo, s18
	s_and_b32 s18, s19, exec_lo
.LBB10_27:                              ;   in Loop: Header=BB10_4 Depth=1
	s_or_b32 exec_lo, exec_lo, s17
	s_and_b32 s17, s18, exec_lo
.LBB10_28:                              ;   in Loop: Header=BB10_4 Depth=1
	s_or_b32 exec_lo, exec_lo, s16
	s_and_b32 s16, s17, exec_lo
.LBB10_29:                              ;   in Loop: Header=BB10_4 Depth=1
	s_or_b32 exec_lo, exec_lo, s15
	s_and_b32 s15, s16, exec_lo
.LBB10_30:                              ;   in Loop: Header=BB10_4 Depth=1
	s_or_b32 exec_lo, exec_lo, s14
	s_and_b32 s14, s15, exec_lo
.LBB10_31:                              ;   in Loop: Header=BB10_4 Depth=1
	s_or_b32 exec_lo, exec_lo, s12
	s_and_b32 s12, s14, exec_lo
.LBB10_32:                              ;   in Loop: Header=BB10_4 Depth=1
	s_or_b32 exec_lo, exec_lo, s9
	s_and_b32 s9, s12, exec_lo
.LBB10_33:                              ;   in Loop: Header=BB10_4 Depth=1
	s_or_b32 exec_lo, exec_lo, s8
	v_cndmask_b32_e64 v1, 0, 1, s9
	s_mov_b32 s12, exec_lo
	v_cmp_ne_u32_e32 vcc_lo, 0, v1
	s_and_saveexec_b32 s8, s0
	s_cbranch_execz .LBB10_3
; %bb.34:                               ;   in Loop: Header=BB10_4 Depth=1
	s_cmp_eq_u32 vcc_lo, s12
	s_cselect_b32 s9, -1, 0
	v_cndmask_b32_e64 v1, 0, 1, s9
	ds_write_b32 v5, v1
	s_branch .LBB10_3
.LBB10_35:                              ;   in Loop: Header=BB10_4 Depth=1
	s_cbranch_execz .LBB10_4
.LBB10_36:
	s_mov_b32 s0, exec_lo
	v_cmpx_eq_u32_e32 0, v0
	s_cbranch_execz .LBB10_38
; %bb.37:
	s_mul_i32 s0, s1, s7
	v_mov_b32_e32 v0, 0
	s_add_i32 s0, s0, s6
	v_mov_b32_e32 v1, s2
	s_ashr_i32 s1, s0, 31
	s_lshl_b64 s[0:1], s[0:1], 2
	s_add_u32 s0, s10, s0
	s_addc_u32 s1, s11, s1
	global_store_dword v0, v1, s[0:1]
.LBB10_38:
	s_endpgm
	.section	.rodata,"a",@progbits
	.p2align	6, 0x0
	.amdhsa_kernel _ZL25flash_attn_mask_to_KV_maxILi8EEvPK7__half2Piiii
		.amdhsa_group_segment_fixed_size 128
		.amdhsa_private_segment_fixed_size 0
		.amdhsa_kernarg_size 288
		.amdhsa_user_sgpr_count 6
		.amdhsa_user_sgpr_private_segment_buffer 1
		.amdhsa_user_sgpr_dispatch_ptr 0
		.amdhsa_user_sgpr_queue_ptr 0
		.amdhsa_user_sgpr_kernarg_segment_ptr 1
		.amdhsa_user_sgpr_dispatch_id 0
		.amdhsa_user_sgpr_flat_scratch_init 0
		.amdhsa_user_sgpr_private_segment_size 0
		.amdhsa_wavefront_size32 1
		.amdhsa_uses_dynamic_stack 0
		.amdhsa_system_sgpr_private_segment_wavefront_offset 0
		.amdhsa_system_sgpr_workgroup_id_x 1
		.amdhsa_system_sgpr_workgroup_id_y 1
		.amdhsa_system_sgpr_workgroup_id_z 0
		.amdhsa_system_sgpr_workgroup_info 0
		.amdhsa_system_vgpr_workitem_id 0
		.amdhsa_next_free_vgpr 10
		.amdhsa_next_free_sgpr 27
		.amdhsa_reserve_vcc 1
		.amdhsa_reserve_flat_scratch 0
		.amdhsa_float_round_mode_32 0
		.amdhsa_float_round_mode_16_64 0
		.amdhsa_float_denorm_mode_32 3
		.amdhsa_float_denorm_mode_16_64 3
		.amdhsa_dx10_clamp 1
		.amdhsa_ieee_mode 1
		.amdhsa_fp16_overflow 0
		.amdhsa_workgroup_processor_mode 1
		.amdhsa_memory_ordered 1
		.amdhsa_forward_progress 1
		.amdhsa_shared_vgpr_count 0
		.amdhsa_exception_fp_ieee_invalid_op 0
		.amdhsa_exception_fp_denorm_src 0
		.amdhsa_exception_fp_ieee_div_zero 0
		.amdhsa_exception_fp_ieee_overflow 0
		.amdhsa_exception_fp_ieee_underflow 0
		.amdhsa_exception_fp_ieee_inexact 0
		.amdhsa_exception_int_div_zero 0
	.end_amdhsa_kernel
	.section	.text._ZL25flash_attn_mask_to_KV_maxILi8EEvPK7__half2Piiii,"axG",@progbits,_ZL25flash_attn_mask_to_KV_maxILi8EEvPK7__half2Piiii,comdat
.Lfunc_end10:
	.size	_ZL25flash_attn_mask_to_KV_maxILi8EEvPK7__half2Piiii, .Lfunc_end10-_ZL25flash_attn_mask_to_KV_maxILi8EEvPK7__half2Piiii
                                        ; -- End function
	.set _ZL25flash_attn_mask_to_KV_maxILi8EEvPK7__half2Piiii.num_vgpr, 10
	.set _ZL25flash_attn_mask_to_KV_maxILi8EEvPK7__half2Piiii.num_agpr, 0
	.set _ZL25flash_attn_mask_to_KV_maxILi8EEvPK7__half2Piiii.numbered_sgpr, 27
	.set _ZL25flash_attn_mask_to_KV_maxILi8EEvPK7__half2Piiii.num_named_barrier, 0
	.set _ZL25flash_attn_mask_to_KV_maxILi8EEvPK7__half2Piiii.private_seg_size, 0
	.set _ZL25flash_attn_mask_to_KV_maxILi8EEvPK7__half2Piiii.uses_vcc, 1
	.set _ZL25flash_attn_mask_to_KV_maxILi8EEvPK7__half2Piiii.uses_flat_scratch, 0
	.set _ZL25flash_attn_mask_to_KV_maxILi8EEvPK7__half2Piiii.has_dyn_sized_stack, 0
	.set _ZL25flash_attn_mask_to_KV_maxILi8EEvPK7__half2Piiii.has_recursion, 0
	.set _ZL25flash_attn_mask_to_KV_maxILi8EEvPK7__half2Piiii.has_indirect_call, 0
	.section	.AMDGPU.csdata,"",@progbits
; Kernel info:
; codeLenInByte = 1124
; TotalNumSgprs: 29
; NumVgprs: 10
; ScratchSize: 0
; MemoryBound: 0
; FloatMode: 240
; IeeeMode: 1
; LDSByteSize: 128 bytes/workgroup (compile time only)
; SGPRBlocks: 0
; VGPRBlocks: 1
; NumSGPRsForWavesPerEU: 29
; NumVGPRsForWavesPerEU: 10
; Occupancy: 16
; WaveLimiterHint : 0
; COMPUTE_PGM_RSRC2:SCRATCH_EN: 0
; COMPUTE_PGM_RSRC2:USER_SGPR: 6
; COMPUTE_PGM_RSRC2:TRAP_HANDLER: 0
; COMPUTE_PGM_RSRC2:TGID_X_EN: 1
; COMPUTE_PGM_RSRC2:TGID_Y_EN: 1
; COMPUTE_PGM_RSRC2:TGID_Z_EN: 0
; COMPUTE_PGM_RSRC2:TIDIG_COMP_CNT: 0
	.section	.text._ZL33flash_attn_stream_k_fixup_uniformILi512ELi8ELi4EEvPfPK15HIP_vector_typeIfLj2EEiiiiiiS1_IjLj3EES5_S5_,"axG",@progbits,_ZL33flash_attn_stream_k_fixup_uniformILi512ELi8ELi4EEvPfPK15HIP_vector_typeIfLj2EEiiiiiiS1_IjLj3EES5_S5_,comdat
	.globl	_ZL33flash_attn_stream_k_fixup_uniformILi512ELi8ELi4EEvPfPK15HIP_vector_typeIfLj2EEiiiiiiS1_IjLj3EES5_S5_ ; -- Begin function _ZL33flash_attn_stream_k_fixup_uniformILi512ELi8ELi4EEvPfPK15HIP_vector_typeIfLj2EEiiiiiiS1_IjLj3EES5_S5_
	.p2align	8
	.type	_ZL33flash_attn_stream_k_fixup_uniformILi512ELi8ELi4EEvPfPK15HIP_vector_typeIfLj2EEiiiiiiS1_IjLj3EES5_S5_,@function
_ZL33flash_attn_stream_k_fixup_uniformILi512ELi8ELi4EEvPfPK15HIP_vector_typeIfLj2EEiiiiiiS1_IjLj3EES5_S5_: ; @_ZL33flash_attn_stream_k_fixup_uniformILi512ELi8ELi4EEvPfPK15HIP_vector_typeIfLj2EEiiiiiiS1_IjLj3EES5_S5_
; %bb.0:
	s_clause 0x2
	s_load_dwordx8 s[12:19], s[4:5], 0x1c
	s_load_dwordx4 s[20:23], s[4:5], 0x3c
	s_load_dwordx2 s[10:11], s[4:5], 0x10
	s_waitcnt lgkmcnt(0)
	s_mul_hi_u32 s0, s15, s6
	s_add_i32 s0, s6, s0
	s_lshr_b32 s0, s0, s16
	s_mul_i32 s1, s0, s17
	s_sub_i32 s2, s6, s1
	s_mul_hi_u32 s1, s2, s18
	s_add_i32 s1, s2, s1
	s_lshr_b32 s1, s1, s19
	s_mul_i32 s3, s1, s20
	s_sub_i32 s2, s2, s3
	s_mul_hi_u32 s3, s2, s21
	s_add_i32 s3, s2, s3
	s_lshr_b32 s3, s3, s22
	s_mul_i32 s9, s3, s23
	s_lshl_b32 s15, s3, 2
	s_sub_i32 s9, s2, s9
	s_lshl_b32 s2, s9, 3
	s_add_i32 s2, s2, s7
	s_cmp_lt_i32 s2, s10
	s_cselect_b32 s2, -1, 0
	s_add_i32 s3, s15, s8
	s_cmp_lt_i32 s3, s13
	s_cselect_b32 s3, -1, 0
	s_and_b32 s2, s2, s3
	s_andn2_b32 vcc_lo, exec_lo, s2
	s_cbranch_vccnz .LBB11_6
; %bb.1:
	s_mul_i32 s0, s0, s10
	s_mul_i32 s10, s1, s13
	s_add_i32 s0, s0, s7
	s_mul_i32 s0, s0, s11
	s_add_i32 s13, s0, s8
	s_load_dwordx4 s[0:3], s[4:5], 0x0
	s_add_i32 s4, s13, s10
	s_mul_i32 s5, s11, s9
	s_add_i32 s4, s4, s15
	s_lshl_b32 s5, s5, 12
	s_lshl_b32 s4, s4, 9
	;; [unrolled: 1-line block ×3, first 2 shown]
	s_add_i32 s5, s5, s4
	s_mul_i32 s4, s14, s6
	v_or_b32_e32 v1, s5, v0
	s_add_i32 s11, s4, s14
	v_ashrrev_i32_e32 v2, 31, v1
	v_lshlrev_b64 v[1:2], 2, v[1:2]
	s_waitcnt lgkmcnt(0)
	v_add_co_u32 v1, vcc_lo, s0, v1
	v_add_co_ci_u32_e64 v2, null, s1, v2, vcc_lo
	s_add_i32 s0, s10, s8
	s_lshl_b32 s1, s11, 5
	s_add_i32 s0, s0, s1
	global_load_dword v5, v[1:2], off
	s_sub_i32 s0, s0, 32
	s_ashr_i32 s1, s0, 31
	s_lshl_b64 s[0:1], s[0:1], 3
	s_add_u32 s0, s2, s0
	s_addc_u32 s1, s3, s1
	s_add_i32 s5, s11, -2
	s_load_dword s13, s[0:1], 0x4
	s_cmp_lt_i32 s5, s4
	s_cbranch_scc1 .LBB11_4
; %bb.2:
	s_lshl_b32 s16, s12, 7
	s_load_dword s15, s[0:1], 0x0
	s_ashr_i32 s17, s16, 31
	s_waitcnt lgkmcnt(0)
	v_mov_b32_e32 v6, s13
	s_lshl_b64 s[0:1], s[16:17], 2
	s_add_u32 s5, s2, s0
	s_addc_u32 s9, s3, s1
	s_add_i32 s6, s6, 1
	s_lshl_b32 s0, s7, 11
	s_lshl_b32 s1, s8, 9
	s_mul_i32 s6, s14, s6
	s_add_i32 s0, s1, s0
	s_lshl_b32 s1, s6, 14
	s_add_i32 s0, s0, s1
	s_lshl_b32 s1, s6, 5
	v_or_b32_e32 v0, s0, v0
	s_lshl_b32 s0, s12, 5
	s_add_i32 s1, s8, s1
	s_add_i32 s6, s11, -1
	s_add_i32 s0, s1, s0
	v_add_nc_u32_e32 v3, 0xffff8000, v0
	v_mov_b32_e32 v0, s15
	s_add_i32 s0, s0, s10
	s_sub_i32 s0, s0, 64
.LBB11_3:                               ; =>This Inner Loop Header: Depth=1
	v_ashrrev_i32_e32 v4, 31, v3
	s_ashr_i32 s1, s0, 31
	s_lshl_b64 s[10:11], s[0:1], 3
	s_add_u32 s10, s2, s10
	v_lshlrev_b64 v[7:8], 2, v[3:4]
	s_addc_u32 s11, s3, s11
	v_add_nc_u32_e32 v3, 0xffffc000, v3
	s_add_i32 s6, s6, -1
	s_sub_i32 s0, s0, 32
	s_cmp_le_i32 s6, s4
	v_add_co_u32 v7, vcc_lo, s5, v7
	v_add_co_ci_u32_e64 v8, null, s9, v8, vcc_lo
	s_load_dwordx2 s[10:11], s[10:11], 0x0
	global_load_dword v4, v[7:8], off
	v_max_f32_e32 v7, v0, v0
	s_waitcnt lgkmcnt(0)
	v_max_f32_e64 v8, s10, s10
	v_max_f32_e32 v7, v7, v8
	v_sub_f32_e32 v8, s10, v7
	v_sub_f32_e32 v0, v0, v7
	v_mul_f32_e32 v9, 0x3fb8aa3b, v8
	v_mul_f32_e32 v12, 0x3fb8aa3b, v0
	v_cmp_ngt_f32_e32 vcc_lo, 0xc2ce8ed0, v8
	v_fma_f32 v10, 0x3fb8aa3b, v8, -v9
	v_rndne_f32_e32 v11, v9
	v_fma_f32 v13, 0x3fb8aa3b, v0, -v12
	v_rndne_f32_e32 v14, v12
	v_fmac_f32_e32 v10, 0x32a5705f, v8
	v_sub_f32_e32 v9, v9, v11
	v_fmac_f32_e32 v13, 0x32a5705f, v0
	v_cvt_i32_f32_e32 v11, v11
	v_add_f32_e32 v9, v9, v10
	v_sub_f32_e32 v10, v12, v14
	v_exp_f32_e32 v9, v9
	v_add_f32_e32 v10, v10, v13
	v_exp_f32_e32 v10, v10
	v_ldexp_f32 v9, v9, v11
	v_cvt_i32_f32_e32 v11, v14
	v_cndmask_b32_e32 v9, 0, v9, vcc_lo
	v_cmp_nlt_f32_e32 vcc_lo, 0x42b17218, v8
	v_ldexp_f32 v10, v10, v11
	v_mov_b32_e32 v11, v6
	v_cndmask_b32_e32 v9, 0x7f800000, v9, vcc_lo
	v_cmp_ngt_f32_e32 vcc_lo, 0xc2ce8ed0, v0
	v_cndmask_b32_e32 v10, 0, v10, vcc_lo
	v_cmp_le_f32_e32 vcc_lo, 0xc1a00000, v8
	v_cndmask_b32_e32 v8, 0, v9, vcc_lo
	v_cmp_nlt_f32_e32 vcc_lo, 0x42b17218, v0
	s_waitcnt vmcnt(1)
	v_mov_b32_e32 v9, v5
	v_cndmask_b32_e32 v5, 0x7f800000, v10, vcc_lo
	v_mul_f32_e32 v10, s11, v8
	v_cmp_le_f32_e32 vcc_lo, 0xc1a00000, v0
	v_mov_b32_e32 v0, v7
	v_mov_b32_e32 v6, v10
	v_cndmask_b32_e32 v12, 0, v5, vcc_lo
	v_fmac_f32_e32 v6, v11, v12
	s_waitcnt vmcnt(0)
	v_mul_f32_e32 v5, v4, v8
	v_fmac_f32_e32 v5, v9, v12
	s_cbranch_scc0 .LBB11_3
	s_branch .LBB11_5
.LBB11_4:
	s_waitcnt lgkmcnt(0)
	v_mov_b32_e32 v6, s13
.LBB11_5:
	s_waitcnt vmcnt(0)
	v_div_scale_f32 v0, null, v6, v6, v5
	v_rcp_f32_e32 v3, v0
	v_fma_f32 v4, -v0, v3, 1.0
	v_fmac_f32_e32 v3, v4, v3
	v_div_scale_f32 v4, vcc_lo, v5, v6, v5
	v_mul_f32_e32 v7, v4, v3
	v_fma_f32 v8, -v0, v7, v4
	v_fmac_f32_e32 v7, v8, v3
	v_fma_f32 v0, -v0, v7, v4
	v_div_fmas_f32 v0, v0, v3, v7
	v_div_fixup_f32 v0, v0, v6, v5
	global_store_dword v[1:2], v0, off
.LBB11_6:
	s_endpgm
	.section	.rodata,"a",@progbits
	.p2align	6, 0x0
	.amdhsa_kernel _ZL33flash_attn_stream_k_fixup_uniformILi512ELi8ELi4EEvPfPK15HIP_vector_typeIfLj2EEiiiiiiS1_IjLj3EES5_S5_
		.amdhsa_group_segment_fixed_size 0
		.amdhsa_private_segment_fixed_size 0
		.amdhsa_kernarg_size 76
		.amdhsa_user_sgpr_count 6
		.amdhsa_user_sgpr_private_segment_buffer 1
		.amdhsa_user_sgpr_dispatch_ptr 0
		.amdhsa_user_sgpr_queue_ptr 0
		.amdhsa_user_sgpr_kernarg_segment_ptr 1
		.amdhsa_user_sgpr_dispatch_id 0
		.amdhsa_user_sgpr_flat_scratch_init 0
		.amdhsa_user_sgpr_private_segment_size 0
		.amdhsa_wavefront_size32 1
		.amdhsa_uses_dynamic_stack 0
		.amdhsa_system_sgpr_private_segment_wavefront_offset 0
		.amdhsa_system_sgpr_workgroup_id_x 1
		.amdhsa_system_sgpr_workgroup_id_y 1
		.amdhsa_system_sgpr_workgroup_id_z 1
		.amdhsa_system_sgpr_workgroup_info 0
		.amdhsa_system_vgpr_workitem_id 0
		.amdhsa_next_free_vgpr 15
		.amdhsa_next_free_sgpr 24
		.amdhsa_reserve_vcc 1
		.amdhsa_reserve_flat_scratch 0
		.amdhsa_float_round_mode_32 0
		.amdhsa_float_round_mode_16_64 0
		.amdhsa_float_denorm_mode_32 3
		.amdhsa_float_denorm_mode_16_64 3
		.amdhsa_dx10_clamp 1
		.amdhsa_ieee_mode 1
		.amdhsa_fp16_overflow 0
		.amdhsa_workgroup_processor_mode 1
		.amdhsa_memory_ordered 1
		.amdhsa_forward_progress 1
		.amdhsa_shared_vgpr_count 0
		.amdhsa_exception_fp_ieee_invalid_op 0
		.amdhsa_exception_fp_denorm_src 0
		.amdhsa_exception_fp_ieee_div_zero 0
		.amdhsa_exception_fp_ieee_overflow 0
		.amdhsa_exception_fp_ieee_underflow 0
		.amdhsa_exception_fp_ieee_inexact 0
		.amdhsa_exception_int_div_zero 0
	.end_amdhsa_kernel
	.section	.text._ZL33flash_attn_stream_k_fixup_uniformILi512ELi8ELi4EEvPfPK15HIP_vector_typeIfLj2EEiiiiiiS1_IjLj3EES5_S5_,"axG",@progbits,_ZL33flash_attn_stream_k_fixup_uniformILi512ELi8ELi4EEvPfPK15HIP_vector_typeIfLj2EEiiiiiiS1_IjLj3EES5_S5_,comdat
.Lfunc_end11:
	.size	_ZL33flash_attn_stream_k_fixup_uniformILi512ELi8ELi4EEvPfPK15HIP_vector_typeIfLj2EEiiiiiiS1_IjLj3EES5_S5_, .Lfunc_end11-_ZL33flash_attn_stream_k_fixup_uniformILi512ELi8ELi4EEvPfPK15HIP_vector_typeIfLj2EEiiiiiiS1_IjLj3EES5_S5_
                                        ; -- End function
	.set _ZL33flash_attn_stream_k_fixup_uniformILi512ELi8ELi4EEvPfPK15HIP_vector_typeIfLj2EEiiiiiiS1_IjLj3EES5_S5_.num_vgpr, 15
	.set _ZL33flash_attn_stream_k_fixup_uniformILi512ELi8ELi4EEvPfPK15HIP_vector_typeIfLj2EEiiiiiiS1_IjLj3EES5_S5_.num_agpr, 0
	.set _ZL33flash_attn_stream_k_fixup_uniformILi512ELi8ELi4EEvPfPK15HIP_vector_typeIfLj2EEiiiiiiS1_IjLj3EES5_S5_.numbered_sgpr, 24
	.set _ZL33flash_attn_stream_k_fixup_uniformILi512ELi8ELi4EEvPfPK15HIP_vector_typeIfLj2EEiiiiiiS1_IjLj3EES5_S5_.num_named_barrier, 0
	.set _ZL33flash_attn_stream_k_fixup_uniformILi512ELi8ELi4EEvPfPK15HIP_vector_typeIfLj2EEiiiiiiS1_IjLj3EES5_S5_.private_seg_size, 0
	.set _ZL33flash_attn_stream_k_fixup_uniformILi512ELi8ELi4EEvPfPK15HIP_vector_typeIfLj2EEiiiiiiS1_IjLj3EES5_S5_.uses_vcc, 1
	.set _ZL33flash_attn_stream_k_fixup_uniformILi512ELi8ELi4EEvPfPK15HIP_vector_typeIfLj2EEiiiiiiS1_IjLj3EES5_S5_.uses_flat_scratch, 0
	.set _ZL33flash_attn_stream_k_fixup_uniformILi512ELi8ELi4EEvPfPK15HIP_vector_typeIfLj2EEiiiiiiS1_IjLj3EES5_S5_.has_dyn_sized_stack, 0
	.set _ZL33flash_attn_stream_k_fixup_uniformILi512ELi8ELi4EEvPfPK15HIP_vector_typeIfLj2EEiiiiiiS1_IjLj3EES5_S5_.has_recursion, 0
	.set _ZL33flash_attn_stream_k_fixup_uniformILi512ELi8ELi4EEvPfPK15HIP_vector_typeIfLj2EEiiiiiiS1_IjLj3EES5_S5_.has_indirect_call, 0
	.section	.AMDGPU.csdata,"",@progbits
; Kernel info:
; codeLenInByte = 848
; TotalNumSgprs: 26
; NumVgprs: 15
; ScratchSize: 0
; MemoryBound: 0
; FloatMode: 240
; IeeeMode: 1
; LDSByteSize: 0 bytes/workgroup (compile time only)
; SGPRBlocks: 0
; VGPRBlocks: 1
; NumSGPRsForWavesPerEU: 26
; NumVGPRsForWavesPerEU: 15
; Occupancy: 16
; WaveLimiterHint : 0
; COMPUTE_PGM_RSRC2:SCRATCH_EN: 0
; COMPUTE_PGM_RSRC2:USER_SGPR: 6
; COMPUTE_PGM_RSRC2:TRAP_HANDLER: 0
; COMPUTE_PGM_RSRC2:TGID_X_EN: 1
; COMPUTE_PGM_RSRC2:TGID_Y_EN: 1
; COMPUTE_PGM_RSRC2:TGID_Z_EN: 1
; COMPUTE_PGM_RSRC2:TIDIG_COMP_CNT: 0
	.section	.text._ZL33flash_attn_stream_k_fixup_generalILi512ELi8ELi4EEvPfPK15HIP_vector_typeIfLj2EEiiiiS1_IjLj3EES5_S5_S5_,"axG",@progbits,_ZL33flash_attn_stream_k_fixup_generalILi512ELi8ELi4EEvPfPK15HIP_vector_typeIfLj2EEiiiiS1_IjLj3EES5_S5_S5_,comdat
	.globl	_ZL33flash_attn_stream_k_fixup_generalILi512ELi8ELi4EEvPfPK15HIP_vector_typeIfLj2EEiiiiS1_IjLj3EES5_S5_S5_ ; -- Begin function _ZL33flash_attn_stream_k_fixup_generalILi512ELi8ELi4EEvPfPK15HIP_vector_typeIfLj2EEiiiiS1_IjLj3EES5_S5_S5_
	.p2align	8
	.type	_ZL33flash_attn_stream_k_fixup_generalILi512ELi8ELi4EEvPfPK15HIP_vector_typeIfLj2EEiiiiS1_IjLj3EES5_S5_S5_,@function
_ZL33flash_attn_stream_k_fixup_generalILi512ELi8ELi4EEvPfPK15HIP_vector_typeIfLj2EEiiiiS1_IjLj3EES5_S5_S5_: ; @_ZL33flash_attn_stream_k_fixup_generalILi512ELi8ELi4EEvPfPK15HIP_vector_typeIfLj2EEiiiiS1_IjLj3EES5_S5_S5_
; %bb.0:
	s_clause 0x1
	s_load_dwordx4 s[0:3], s[4:5], 0x10
	s_load_dword s9, s[4:5], 0x50
	s_mov_b32 s16, 0
	s_waitcnt lgkmcnt(0)
	s_mul_hi_i32 s17, s3, s6
	s_mul_i32 s18, s3, s6
	s_cmp_lg_u64 s[16:17], 0
	s_cbranch_scc0 .LBB12_21
; %bb.1:
	s_add_u32 s10, s9, 0
	s_addc_u32 s11, 0, 0
	s_xor_b64 s[10:11], s[10:11], 0
	v_cvt_f32_u32_e32 v1, s10
	v_cvt_f32_u32_e32 v2, s11
	s_sub_u32 s14, 0, s10
	s_subb_u32 s15, 0, s11
	v_fmamk_f32 v1, v2, 0x4f800000, v1
	v_rcp_f32_e32 v1, v1
	v_mul_f32_e32 v1, 0x5f7ffffc, v1
	v_mul_f32_e32 v2, 0x2f800000, v1
	v_trunc_f32_e32 v2, v2
	v_fmamk_f32 v1, v2, 0xcf800000, v1
	v_cvt_u32_f32_e32 v2, v2
	v_cvt_u32_f32_e32 v1, v1
	v_readfirstlane_b32 s12, v2
	v_readfirstlane_b32 s13, v1
	s_mul_i32 s19, s14, s12
	s_mul_hi_u32 s21, s14, s13
	s_mul_i32 s20, s15, s13
	s_add_i32 s19, s21, s19
	s_mul_i32 s22, s14, s13
	s_add_i32 s19, s19, s20
	s_mul_hi_u32 s21, s13, s22
	s_mul_i32 s24, s13, s19
	s_mul_hi_u32 s23, s12, s22
	s_mul_i32 s20, s12, s22
	s_mul_hi_u32 s22, s13, s19
	s_add_u32 s21, s21, s24
	s_addc_u32 s22, 0, s22
	s_mul_hi_u32 s25, s12, s19
	s_add_u32 s20, s21, s20
	s_mul_i32 s19, s12, s19
	s_addc_u32 s20, s22, s23
	s_addc_u32 s21, s25, 0
	s_add_u32 s19, s20, s19
	s_addc_u32 s20, 0, s21
	s_add_u32 s13, s13, s19
	s_cselect_b32 s19, -1, 0
	s_mul_hi_u32 s21, s14, s13
	s_cmp_lg_u32 s19, 0
	s_mul_i32 s19, s14, s13
	s_addc_u32 s12, s12, s20
	s_mul_i32 s15, s15, s13
	s_mul_i32 s14, s14, s12
	s_mul_hi_u32 s20, s13, s19
	s_add_i32 s14, s21, s14
	s_mul_hi_u32 s21, s12, s19
	s_add_i32 s14, s14, s15
	s_mul_i32 s15, s12, s19
	s_mul_i32 s23, s13, s14
	s_mul_hi_u32 s22, s13, s14
	s_add_u32 s20, s20, s23
	s_addc_u32 s22, 0, s22
	s_mul_hi_u32 s19, s12, s14
	s_add_u32 s15, s20, s15
	s_mul_i32 s14, s12, s14
	s_addc_u32 s15, s22, s21
	s_addc_u32 s19, s19, 0
	s_add_u32 s14, s15, s14
	s_addc_u32 s15, 0, s19
	s_add_u32 s19, s13, s14
	s_cselect_b32 s13, -1, 0
	s_cmp_lg_u32 s13, 0
	s_addc_u32 s20, s12, s15
	s_ashr_i32 s12, s17, 31
	s_add_u32 s14, s18, s12
	s_mov_b32 s13, s12
	s_addc_u32 s15, s17, s12
	s_xor_b64 s[14:15], s[14:15], s[12:13]
	s_mul_i32 s21, s14, s20
	s_mul_hi_u32 s22, s14, s19
	s_mul_hi_u32 s17, s14, s20
	;; [unrolled: 1-line block ×3, first 2 shown]
	s_mul_i32 s19, s15, s19
	s_add_u32 s21, s22, s21
	s_addc_u32 s17, 0, s17
	s_mul_hi_u32 s23, s15, s20
	s_add_u32 s19, s21, s19
	s_mul_i32 s20, s15, s20
	s_addc_u32 s17, s17, s24
	s_addc_u32 s19, s23, 0
	s_add_u32 s17, s17, s20
	s_addc_u32 s19, 0, s19
	s_mul_hi_u32 s20, s10, s17
	s_mul_i32 s21, s10, s19
	s_mul_i32 s22, s11, s17
	s_add_i32 s20, s20, s21
	s_mul_i32 s21, s10, s17
	s_add_i32 s20, s20, s22
	s_sub_i32 s22, s15, s20
	s_sub_u32 s14, s14, s21
	s_cselect_b32 s21, -1, 0
	s_cmp_lg_u32 s21, 0
	s_subb_u32 s22, s22, s11
	s_sub_u32 s23, s14, s10
	s_cselect_b32 s24, -1, 0
	s_cmp_lg_u32 s24, 0
	s_subb_u32 s22, s22, 0
	s_cmp_ge_u32 s22, s11
	s_cselect_b32 s24, -1, 0
	s_cmp_ge_u32 s23, s10
	s_cselect_b32 s23, -1, 0
	s_cmp_eq_u32 s22, s11
	s_cselect_b32 s22, s23, s24
	s_add_u32 s23, s17, 1
	s_addc_u32 s24, s19, 0
	s_add_u32 s25, s17, 2
	s_addc_u32 s26, s19, 0
	s_cmp_lg_u32 s22, 0
	s_cselect_b32 s22, s25, s23
	s_cselect_b32 s23, s26, s24
	s_cmp_lg_u32 s21, 0
	s_subb_u32 s15, s15, s20
	s_cmp_ge_u32 s15, s11
	s_cselect_b32 s20, -1, 0
	s_cmp_ge_u32 s14, s10
	s_cselect_b32 s10, -1, 0
	s_cmp_eq_u32 s15, s11
	s_cselect_b32 s10, s10, s20
	s_cmp_lg_u32 s10, 0
	s_cselect_b32 s11, s23, s19
	s_cselect_b32 s10, s22, s17
	s_xor_b64 s[12:13], s[12:13], 0
	s_xor_b64 s[10:11], s[10:11], s[12:13]
	s_sub_u32 s10, s10, s12
	s_load_dwordx4 s[12:15], s[4:5], 0x44
	s_andn2_b32 vcc_lo, exec_lo, s16
	s_cbranch_vccnz .LBB12_3
.LBB12_2:
	v_cvt_f32_u32_e32 v1, s9
	s_sub_i32 s11, 0, s9
	v_rcp_iflag_f32_e32 v1, v1
	v_mul_f32_e32 v1, 0x4f7ffffe, v1
	v_cvt_u32_f32_e32 v1, v1
	v_readfirstlane_b32 s10, v1
	s_mul_i32 s11, s11, s10
	s_mul_hi_u32 s11, s10, s11
	s_add_i32 s10, s10, s11
	s_mul_hi_u32 s10, s18, s10
	s_mul_i32 s11, s10, s9
	s_waitcnt lgkmcnt(0)
	s_add_i32 s15, s10, 1
	s_sub_i32 s11, s18, s11
	s_sub_i32 s16, s11, s9
	s_cmp_ge_u32 s11, s9
	s_cselect_b32 s10, s15, s10
	s_cselect_b32 s11, s16, s11
	s_add_i32 s15, s10, 1
	s_cmp_ge_u32 s11, s9
	s_cselect_b32 s10, s15, s10
.LBB12_3:
	s_add_i32 s11, s6, 1
	s_mov_b32 s16, 0
	s_mul_hi_i32 s17, s3, s11
	s_mul_i32 s11, s3, s11
	s_cmp_lg_u64 s[16:17], 0
	s_cbranch_scc0 .LBB12_22
; %bb.4:
	s_add_u32 s18, s9, 0
	s_addc_u32 s19, 0, 0
	s_xor_b64 s[18:19], s[18:19], 0
	v_cvt_f32_u32_e32 v1, s18
	v_cvt_f32_u32_e32 v2, s19
	s_sub_u32 s21, 0, s18
	s_subb_u32 s22, 0, s19
	v_fmamk_f32 v1, v2, 0x4f800000, v1
	v_rcp_f32_e32 v1, v1
	v_mul_f32_e32 v1, 0x5f7ffffc, v1
	v_mul_f32_e32 v2, 0x2f800000, v1
	v_trunc_f32_e32 v2, v2
	v_fmamk_f32 v1, v2, 0xcf800000, v1
	v_cvt_u32_f32_e32 v2, v2
	v_cvt_u32_f32_e32 v1, v1
	s_waitcnt lgkmcnt(0)
	v_readfirstlane_b32 s15, v2
	v_readfirstlane_b32 s20, v1
	s_mul_i32 s23, s21, s15
	s_mul_hi_u32 s25, s21, s20
	s_mul_i32 s24, s22, s20
	s_add_i32 s23, s25, s23
	s_mul_i32 s26, s21, s20
	s_add_i32 s23, s23, s24
	s_mul_hi_u32 s25, s20, s26
	s_mul_i32 s28, s20, s23
	s_mul_hi_u32 s27, s15, s26
	s_mul_i32 s24, s15, s26
	s_mul_hi_u32 s26, s20, s23
	s_add_u32 s25, s25, s28
	s_addc_u32 s26, 0, s26
	s_mul_hi_u32 s29, s15, s23
	s_add_u32 s24, s25, s24
	s_mul_i32 s23, s15, s23
	s_addc_u32 s24, s26, s27
	s_addc_u32 s25, s29, 0
	s_add_u32 s23, s24, s23
	s_addc_u32 s24, 0, s25
	s_add_u32 s20, s20, s23
	s_cselect_b32 s23, -1, 0
	s_mul_hi_u32 s25, s21, s20
	s_cmp_lg_u32 s23, 0
	s_mul_i32 s23, s21, s20
	s_addc_u32 s15, s15, s24
	s_mul_i32 s22, s22, s20
	s_mul_i32 s21, s21, s15
	s_mul_hi_u32 s24, s20, s23
	s_add_i32 s21, s25, s21
	s_mul_hi_u32 s25, s15, s23
	s_add_i32 s21, s21, s22
	s_mul_i32 s22, s15, s23
	s_mul_i32 s27, s20, s21
	s_mul_hi_u32 s26, s20, s21
	s_add_u32 s24, s24, s27
	s_addc_u32 s26, 0, s26
	s_mul_hi_u32 s23, s15, s21
	s_add_u32 s22, s24, s22
	s_mul_i32 s21, s15, s21
	s_addc_u32 s22, s26, s25
	s_addc_u32 s23, s23, 0
	s_add_u32 s21, s22, s21
	s_addc_u32 s22, 0, s23
	s_add_u32 s24, s20, s21
	s_cselect_b32 s20, -1, 0
	s_cmp_lg_u32 s20, 0
	s_addc_u32 s15, s15, s22
	s_ashr_i32 s20, s17, 31
	s_add_u32 s22, s11, s20
	s_mov_b32 s21, s20
	s_addc_u32 s23, s17, s20
	s_xor_b64 s[22:23], s[22:23], s[20:21]
	s_mul_i32 s25, s22, s15
	s_mul_hi_u32 s26, s22, s24
	s_mul_hi_u32 s17, s22, s15
	;; [unrolled: 1-line block ×3, first 2 shown]
	s_mul_i32 s24, s23, s24
	s_add_u32 s25, s26, s25
	s_addc_u32 s17, 0, s17
	s_mul_hi_u32 s27, s23, s15
	s_add_u32 s24, s25, s24
	s_mul_i32 s15, s23, s15
	s_addc_u32 s17, s17, s28
	s_addc_u32 s24, s27, 0
	s_add_u32 s15, s17, s15
	s_addc_u32 s17, 0, s24
	s_mul_hi_u32 s24, s18, s15
	s_mul_i32 s25, s18, s17
	s_mul_i32 s26, s19, s15
	s_add_i32 s24, s24, s25
	s_mul_i32 s25, s18, s15
	s_add_i32 s24, s24, s26
	s_sub_i32 s26, s23, s24
	s_sub_u32 s22, s22, s25
	s_cselect_b32 s25, -1, 0
	s_cmp_lg_u32 s25, 0
	s_subb_u32 s26, s26, s19
	s_sub_u32 s27, s22, s18
	s_cselect_b32 s28, -1, 0
	s_cmp_lg_u32 s28, 0
	s_subb_u32 s26, s26, 0
	s_cmp_ge_u32 s26, s19
	s_cselect_b32 s28, -1, 0
	s_cmp_ge_u32 s27, s18
	s_cselect_b32 s27, -1, 0
	s_cmp_eq_u32 s26, s19
	s_cselect_b32 s26, s27, s28
	s_add_u32 s27, s15, 1
	s_addc_u32 s28, s17, 0
	s_add_u32 s29, s15, 2
	s_addc_u32 s30, s17, 0
	s_cmp_lg_u32 s26, 0
	s_cselect_b32 s26, s29, s27
	s_cselect_b32 s27, s30, s28
	s_cmp_lg_u32 s25, 0
	s_subb_u32 s23, s23, s24
	s_cmp_ge_u32 s23, s19
	s_cselect_b32 s24, -1, 0
	s_cmp_ge_u32 s22, s18
	s_cselect_b32 s18, -1, 0
	s_cmp_eq_u32 s23, s19
	s_cselect_b32 s18, s18, s24
	s_cmp_lg_u32 s18, 0
	s_cselect_b32 s19, s27, s17
	s_cselect_b32 s18, s26, s15
	s_xor_b64 s[20:21], s[20:21], 0
	s_xor_b64 s[18:19], s[18:19], s[20:21]
	s_sub_u32 s18, s18, s20
	s_andn2_b32 vcc_lo, exec_lo, s16
	s_cbranch_vccnz .LBB12_6
.LBB12_5:
	v_cvt_f32_u32_e32 v1, s9
	s_sub_i32 s16, 0, s9
	v_rcp_iflag_f32_e32 v1, v1
	v_mul_f32_e32 v1, 0x4f7ffffe, v1
	v_cvt_u32_f32_e32 v1, v1
	s_waitcnt lgkmcnt(0)
	v_readfirstlane_b32 s15, v1
	s_mul_i32 s16, s16, s15
	s_mul_hi_u32 s16, s15, s16
	s_add_i32 s15, s15, s16
	s_mul_hi_u32 s15, s11, s15
	s_mul_i32 s16, s15, s9
	s_sub_i32 s11, s11, s16
	s_add_i32 s16, s15, 1
	s_sub_i32 s17, s11, s9
	s_cmp_ge_u32 s11, s9
	s_cselect_b32 s15, s16, s15
	s_cselect_b32 s11, s17, s11
	s_add_i32 s16, s15, 1
	s_cmp_ge_u32 s11, s9
	s_cselect_b32 s18, s16, s15
.LBB12_6:
	s_cmp_eq_u32 s10, s18
	s_waitcnt lgkmcnt(0)
	s_mul_hi_u32 s11, s10, s12
	s_cselect_b32 s15, -1, 0
	s_add_i32 s11, s11, s10
	s_lshr_b32 s11, s11, s13
	s_mul_i32 s16, s11, s14
	s_cmp_eq_u32 s16, s10
	s_mul_hi_u32 s16, s18, s12
	s_cselect_b32 s17, -1, 0
	s_add_i32 s16, s16, s18
	s_lshr_b32 s16, s16, s13
	s_cmp_eq_u32 s11, s16
	s_mul_i32 s16, s16, s14
	s_cselect_b32 s19, -1, 0
	s_cmp_lg_u32 s16, s18
	s_cselect_b32 s16, -1, 0
	s_or_b32 s15, s15, s17
	s_and_b32 s16, s19, s16
	s_or_b32 s15, s15, s16
	s_and_b32 vcc_lo, exec_lo, s15
	s_cbranch_vccnz .LBB12_24
; %bb.7:
	s_clause 0x1
	s_load_dwordx8 s[20:27], s[4:5], 0x20
	s_load_dword s16, s[4:5], 0x40
	s_waitcnt lgkmcnt(0)
	s_mul_hi_u32 s15, s10, s20
	s_add_i32 s15, s15, s10
	s_lshr_b32 s15, s15, s21
	s_mul_i32 s17, s15, s22
	s_sub_i32 s17, s10, s17
	s_mul_hi_u32 s18, s17, s23
	s_add_i32 s18, s17, s18
	s_lshr_b32 s22, s18, s24
	s_mul_i32 s18, s22, s25
	s_sub_i32 s17, s17, s18
	s_mul_hi_u32 s18, s17, s26
	s_add_i32 s18, s17, s18
	s_lshr_b32 s18, s18, s27
	s_mul_i32 s16, s18, s16
	s_lshl_b32 s24, s18, 2
	s_sub_i32 s16, s17, s16
	s_mul_hi_u32 s17, s16, s12
	s_add_i32 s16, s16, s17
	s_lshr_b32 s23, s16, s13
	s_lshl_b32 s16, s23, 3
	s_add_i32 s16, s16, s7
	s_cmp_lt_i32 s16, s0
	s_cselect_b32 s16, -1, 0
	s_add_i32 s17, s24, s8
	s_cmp_lt_i32 s17, s2
	s_cselect_b32 s17, -1, 0
	s_and_b32 s16, s16, s17
	s_andn2_b32 vcc_lo, exec_lo, s16
	s_cbranch_vccnz .LBB12_24
; %bb.8:
	s_load_dwordx4 s[16:19], s[4:5], 0x0
	s_mov_b32 s4, 0
	s_lshl_b32 s20, s9, 7
	s_mov_b32 s21, s4
	s_lshl_b32 s5, s7, 2
	s_lshl_b64 s[20:21], s[20:21], 2
	s_mul_i32 s0, s15, s0
	s_add_i32 s15, s5, s8
	s_mul_i32 s22, s22, s2
	v_cvt_f32_u32_e32 v4, s9
	v_rcp_iflag_f32_e32 v4, v4
	s_waitcnt lgkmcnt(0)
	s_add_u32 s20, s18, s20
	s_addc_u32 s21, s19, s21
	s_add_i32 s0, s0, s7
	s_mul_i32 s0, s0, s1
	s_mul_i32 s1, s1, s23
	s_add_i32 s0, s0, s8
	s_lshl_b32 s1, s1, 12
	s_add_i32 s0, s0, s22
	v_mul_f32_e32 v4, 0x4f7ffffe, v4
	s_add_i32 s0, s0, s24
	s_lshl_b32 s0, s0, 9
	s_add_i32 s1, s1, s0
	s_lshl_b32 s0, s6, 5
	v_or_b32_e32 v1, s1, v0
	s_add_i32 s0, s15, s0
	v_lshl_or_b32 v0, s15, 9, v0
	s_ashr_i32 s1, s0, 31
	v_cvt_u32_f32_e32 v4, v4
	v_ashrrev_i32_e32 v2, 31, v1
	s_lshl_b64 s[0:1], s[0:1], 3
	s_add_u32 s0, s18, s0
	s_addc_u32 s1, s19, s1
	v_lshlrev_b64 v[1:2], 2, v[1:2]
	s_load_dwordx2 s[0:1], s[0:1], 0x0
	s_add_i32 s8, s6, -1
	s_sub_i32 s2, 0, s9
	v_add_co_u32 v1, vcc_lo, s16, v1
	v_add_co_ci_u32_e64 v2, null, s17, v2, vcc_lo
	global_load_dword v3, v[1:2], off
	s_waitcnt lgkmcnt(0)
	v_mov_b32_e32 v5, s1
	v_mov_b32_e32 v6, s0
.LBB12_9:                               ; =>This Inner Loop Header: Depth=1
	s_mul_hi_i32 s5, s8, s3
	s_mul_i32 s6, s8, s3
	s_cmp_lg_u64 s[4:5], 0
	s_mov_b32 s7, -1
                                        ; implicit-def: $sgpr0_sgpr1
	s_cbranch_scc0 .LBB12_11
; %bb.10:                               ;   in Loop: Header=BB12_9 Depth=1
	s_add_u32 s0, s9, 0
	s_addc_u32 s1, 0, 0
	s_xor_b64 s[0:1], s[0:1], 0
	v_cvt_f32_u32_e32 v7, s0
	v_cvt_f32_u32_e32 v8, s1
	s_sub_u32 s17, 0, s0
	s_subb_u32 s22, 0, s1
	v_fmac_f32_e32 v7, 0x4f800000, v8
	v_rcp_f32_e32 v7, v7
	v_mul_f32_e32 v7, 0x5f7ffffc, v7
	v_mul_f32_e32 v8, 0x2f800000, v7
	v_trunc_f32_e32 v8, v8
	v_fmac_f32_e32 v7, 0xcf800000, v8
	v_cvt_u32_f32_e32 v8, v8
	v_cvt_u32_f32_e32 v7, v7
	v_readfirstlane_b32 s7, v8
	v_readfirstlane_b32 s16, v7
	s_mul_i32 s23, s17, s7
	s_mul_hi_u32 s25, s17, s16
	s_mul_i32 s24, s22, s16
	s_add_i32 s23, s25, s23
	s_mul_i32 s26, s17, s16
	s_add_i32 s23, s23, s24
	s_mul_hi_u32 s25, s16, s26
	s_mul_i32 s28, s16, s23
	s_mul_hi_u32 s27, s7, s26
	s_mul_i32 s24, s7, s26
	s_mul_hi_u32 s26, s16, s23
	s_add_u32 s25, s25, s28
	s_addc_u32 s26, 0, s26
	s_mul_hi_u32 s29, s7, s23
	s_add_u32 s24, s25, s24
	s_mul_i32 s23, s7, s23
	s_addc_u32 s24, s26, s27
	s_addc_u32 s25, s29, 0
	s_add_u32 s23, s24, s23
	s_addc_u32 s24, 0, s25
	s_add_u32 s16, s16, s23
	s_cselect_b32 s23, -1, 0
	s_mul_hi_u32 s25, s17, s16
	s_cmp_lg_u32 s23, 0
	s_mul_i32 s23, s17, s16
	s_addc_u32 s7, s7, s24
	s_mul_i32 s22, s22, s16
	s_mul_i32 s17, s17, s7
	s_mul_hi_u32 s24, s16, s23
	s_add_i32 s17, s25, s17
	s_mul_hi_u32 s25, s7, s23
	s_add_i32 s17, s17, s22
	s_mul_i32 s22, s7, s23
	s_mul_i32 s27, s16, s17
	s_mul_hi_u32 s26, s16, s17
	s_add_u32 s24, s24, s27
	s_addc_u32 s26, 0, s26
	s_mul_hi_u32 s23, s7, s17
	s_add_u32 s22, s24, s22
	s_mul_i32 s17, s7, s17
	s_addc_u32 s22, s26, s25
	s_addc_u32 s23, s23, 0
	s_add_u32 s17, s22, s17
	s_addc_u32 s22, 0, s23
	s_add_u32 s24, s16, s17
	s_cselect_b32 s16, -1, 0
	s_cmp_lg_u32 s16, 0
	s_addc_u32 s7, s7, s22
	s_ashr_i32 s16, s5, 31
	s_add_u32 s22, s6, s16
	s_mov_b32 s17, s16
	s_addc_u32 s23, s5, s16
	s_xor_b64 s[22:23], s[22:23], s[16:17]
	s_mul_i32 s25, s22, s7
	s_mul_hi_u32 s26, s22, s24
	s_mul_hi_u32 s5, s22, s7
	s_mul_hi_u32 s28, s23, s24
	s_mul_i32 s24, s23, s24
	s_add_u32 s25, s26, s25
	s_addc_u32 s5, 0, s5
	s_mul_hi_u32 s27, s23, s7
	s_add_u32 s24, s25, s24
	s_mul_i32 s7, s23, s7
	s_addc_u32 s5, s5, s28
	s_addc_u32 s24, s27, 0
	s_add_u32 s5, s5, s7
	s_addc_u32 s7, 0, s24
	s_mul_hi_u32 s24, s0, s5
	s_mul_i32 s25, s0, s7
	s_mul_i32 s26, s1, s5
	s_add_i32 s24, s24, s25
	s_mul_i32 s25, s0, s5
	s_add_i32 s24, s24, s26
	s_sub_i32 s26, s23, s24
	s_sub_u32 s22, s22, s25
	s_cselect_b32 s25, -1, 0
	s_cmp_lg_u32 s25, 0
	s_subb_u32 s26, s26, s1
	s_sub_u32 s27, s22, s0
	s_cselect_b32 s28, -1, 0
	s_cmp_lg_u32 s28, 0
	s_subb_u32 s26, s26, 0
	s_cmp_ge_u32 s26, s1
	s_cselect_b32 s28, -1, 0
	s_cmp_ge_u32 s27, s0
	s_cselect_b32 s27, -1, 0
	s_cmp_eq_u32 s26, s1
	s_cselect_b32 s26, s27, s28
	s_add_u32 s27, s5, 1
	s_addc_u32 s28, s7, 0
	s_add_u32 s29, s5, 2
	s_addc_u32 s30, s7, 0
	s_cmp_lg_u32 s26, 0
	s_cselect_b32 s26, s29, s27
	s_cselect_b32 s27, s30, s28
	s_cmp_lg_u32 s25, 0
	s_subb_u32 s23, s23, s24
	s_cmp_ge_u32 s23, s1
	s_cselect_b32 s24, -1, 0
	s_cmp_ge_u32 s22, s0
	s_cselect_b32 s0, -1, 0
	s_cmp_eq_u32 s23, s1
	s_cselect_b32 s0, s0, s24
	s_cmp_lg_u32 s0, 0
	s_cselect_b32 s1, s27, s7
	s_cselect_b32 s0, s26, s5
	s_xor_b64 s[16:17], s[16:17], 0
	s_mov_b32 s7, 0
	s_xor_b64 s[0:1], s[0:1], s[16:17]
	s_sub_u32 s0, s0, s16
.LBB12_11:                              ;   in Loop: Header=BB12_9 Depth=1
	s_andn2_b32 vcc_lo, exec_lo, s7
	s_cbranch_vccnz .LBB12_13
; %bb.12:                               ;   in Loop: Header=BB12_9 Depth=1
	v_readfirstlane_b32 s0, v4
	s_mul_i32 s1, s2, s0
	s_mul_hi_u32 s1, s0, s1
	s_add_i32 s0, s0, s1
	s_mul_hi_u32 s0, s6, s0
	s_mul_i32 s1, s0, s9
	s_add_i32 s5, s0, 1
	s_sub_i32 s1, s6, s1
	s_sub_i32 s6, s1, s9
	s_cmp_ge_u32 s1, s9
	s_cselect_b32 s0, s5, s0
	s_cselect_b32 s1, s6, s1
	s_add_i32 s5, s0, 1
	s_cmp_ge_u32 s1, s9
	s_cselect_b32 s0, s5, s0
.LBB12_13:                              ;   in Loop: Header=BB12_9 Depth=1
	s_cmp_lg_u32 s10, s0
	s_mov_b32 s6, -1
                                        ; implicit-def: $sgpr5
                                        ; implicit-def: $vgpr8
                                        ; implicit-def: $vgpr7
                                        ; implicit-def: $vgpr9
                                        ; implicit-def: $sgpr1
                                        ; implicit-def: $sgpr16
	s_cbranch_scc0 .LBB12_18
; %bb.14:                               ;   in Loop: Header=BB12_9 Depth=1
	s_add_i32 s1, s8, s9
	s_mov_b32 s7, s4
	s_lshl_b32 s1, s1, 5
	s_mov_b32 s16, s10
	s_add_i32 s6, s1, s15
	s_mul_hi_u32 s1, s0, s12
	s_lshl_b64 s[6:7], s[6:7], 3
	s_add_u32 s6, s18, s6
	s_addc_u32 s7, s19, s7
	s_add_i32 s1, s1, s0
	s_lshr_b32 s1, s1, s13
	s_mul_i32 s5, s1, s14
	s_cmp_eq_u32 s5, s0
	s_cselect_b32 s5, -1, 0
	s_cmp_lt_u32 s1, s11
	s_cselect_b32 s1, -1, 0
	s_or_b32 s1, s1, s5
	s_mov_b32 s5, -1
	s_and_b32 vcc_lo, exec_lo, s1
	s_mov_b32 s1, s8
	s_cbranch_vccnz .LBB12_16
; %bb.15:                               ;   in Loop: Header=BB12_9 Depth=1
	s_add_i32 s1, s8, -1
	s_mov_b32 s5, 0
	s_mov_b32 s16, s0
.LBB12_16:                              ;   in Loop: Header=BB12_9 Depth=1
	v_lshl_add_u32 v7, s8, 14, v0
	s_load_dwordx2 s[6:7], s[6:7], 0x0
	v_ashrrev_i32_e32 v8, 31, v7
	v_lshlrev_b64 v[7:8], 2, v[7:8]
	v_add_co_u32 v7, vcc_lo, s20, v7
	v_add_co_ci_u32_e64 v8, null, s21, v8, vcc_lo
	s_waitcnt lgkmcnt(0)
	v_max_f32_e64 v9, s6, s6
	global_load_dword v8, v[7:8], off
	v_max_f32_e32 v7, v6, v6
	v_max_f32_e32 v7, v7, v9
	v_sub_f32_e32 v9, s6, v7
	v_sub_f32_e32 v10, v6, v7
	v_mul_f32_e32 v11, 0x3fb8aa3b, v9
	v_mul_f32_e32 v12, 0x3fb8aa3b, v10
	v_cmp_ngt_f32_e32 vcc_lo, 0xc2ce8ed0, v9
	v_fma_f32 v13, 0x3fb8aa3b, v9, -v11
	v_rndne_f32_e32 v14, v11
	v_fma_f32 v15, 0x3fb8aa3b, v10, -v12
	v_rndne_f32_e32 v16, v12
	v_fmac_f32_e32 v13, 0x32a5705f, v9
	v_sub_f32_e32 v11, v11, v14
	v_fmac_f32_e32 v15, 0x32a5705f, v10
	v_sub_f32_e32 v12, v12, v16
	v_add_f32_e32 v11, v11, v13
	v_cvt_i32_f32_e32 v13, v14
	v_add_f32_e32 v12, v12, v15
	v_cvt_i32_f32_e32 v14, v16
	v_exp_f32_e32 v11, v11
	v_exp_f32_e32 v12, v12
	v_ldexp_f32 v11, v11, v13
	v_ldexp_f32 v12, v12, v14
	v_cndmask_b32_e32 v11, 0, v11, vcc_lo
	v_cmp_ngt_f32_e32 vcc_lo, 0xc2ce8ed0, v10
	v_cndmask_b32_e32 v12, 0, v12, vcc_lo
	v_cmp_nlt_f32_e32 vcc_lo, 0x42b17218, v9
	v_cndmask_b32_e32 v11, 0x7f800000, v11, vcc_lo
	v_cmp_nlt_f32_e32 vcc_lo, 0x42b17218, v10
	v_cndmask_b32_e32 v12, 0x7f800000, v12, vcc_lo
	v_cmp_le_f32_e32 vcc_lo, 0xc1a00000, v9
	v_cndmask_b32_e32 v9, 0, v11, vcc_lo
	v_cmp_le_f32_e32 vcc_lo, 0xc1a00000, v10
	v_cndmask_b32_e32 v10, 0, v12, vcc_lo
	s_waitcnt vmcnt(0)
	v_mul_f32_e32 v8, v8, v9
	v_mul_f32_e32 v9, s7, v9
	v_fmac_f32_e32 v8, v3, v10
	v_fmac_f32_e32 v9, v5, v10
	s_cbranch_execz .LBB12_19
.LBB12_17:                              ;   in Loop: Header=BB12_9 Depth=1
	s_andn2_b32 vcc_lo, exec_lo, s5
	s_cbranch_vccnz .LBB12_20
	s_branch .LBB12_23
.LBB12_18:                              ;   in Loop: Header=BB12_9 Depth=1
	s_andn2_b32 vcc_lo, exec_lo, s6
	s_cbranch_vccnz .LBB12_17
.LBB12_19:                              ;   in Loop: Header=BB12_9 Depth=1
	v_mov_b32_e32 v9, v5
	v_mov_b32_e32 v7, v6
	s_waitcnt vmcnt(0)
	v_mov_b32_e32 v8, v3
	s_add_i32 s1, s8, -1
	s_mov_b32 s16, s10
	s_cbranch_execz .LBB12_23
.LBB12_20:                              ;   in Loop: Header=BB12_9 Depth=1
	v_mov_b32_e32 v5, v9
	v_mov_b32_e32 v6, v7
	s_waitcnt vmcnt(0)
	v_mov_b32_e32 v3, v8
	s_mov_b32 s10, s16
	s_mov_b32 s8, s1
	s_branch .LBB12_9
.LBB12_21:
                                        ; implicit-def: $sgpr10_sgpr11
	s_load_dwordx4 s[12:15], s[4:5], 0x44
	s_branch .LBB12_2
.LBB12_22:
                                        ; implicit-def: $sgpr18_sgpr19
	s_branch .LBB12_5
.LBB12_23:
	v_div_scale_f32 v0, null, v9, v9, v8
	s_waitcnt vmcnt(0)
	v_rcp_f32_e32 v3, v0
	v_fma_f32 v4, -v0, v3, 1.0
	v_fmac_f32_e32 v3, v4, v3
	v_div_scale_f32 v4, vcc_lo, v8, v9, v8
	v_mul_f32_e32 v5, v4, v3
	v_fma_f32 v6, -v0, v5, v4
	v_fmac_f32_e32 v5, v6, v3
	v_fma_f32 v0, -v0, v5, v4
	v_div_fmas_f32 v0, v0, v3, v5
	v_div_fixup_f32 v0, v0, v9, v8
	global_store_dword v[1:2], v0, off
.LBB12_24:
	s_endpgm
	.section	.rodata,"a",@progbits
	.p2align	6, 0x0
	.amdhsa_kernel _ZL33flash_attn_stream_k_fixup_generalILi512ELi8ELi4EEvPfPK15HIP_vector_typeIfLj2EEiiiiS1_IjLj3EES5_S5_S5_
		.amdhsa_group_segment_fixed_size 0
		.amdhsa_private_segment_fixed_size 0
		.amdhsa_kernarg_size 336
		.amdhsa_user_sgpr_count 6
		.amdhsa_user_sgpr_private_segment_buffer 1
		.amdhsa_user_sgpr_dispatch_ptr 0
		.amdhsa_user_sgpr_queue_ptr 0
		.amdhsa_user_sgpr_kernarg_segment_ptr 1
		.amdhsa_user_sgpr_dispatch_id 0
		.amdhsa_user_sgpr_flat_scratch_init 0
		.amdhsa_user_sgpr_private_segment_size 0
		.amdhsa_wavefront_size32 1
		.amdhsa_uses_dynamic_stack 0
		.amdhsa_system_sgpr_private_segment_wavefront_offset 0
		.amdhsa_system_sgpr_workgroup_id_x 1
		.amdhsa_system_sgpr_workgroup_id_y 1
		.amdhsa_system_sgpr_workgroup_id_z 1
		.amdhsa_system_sgpr_workgroup_info 0
		.amdhsa_system_vgpr_workitem_id 0
		.amdhsa_next_free_vgpr 17
		.amdhsa_next_free_sgpr 31
		.amdhsa_reserve_vcc 1
		.amdhsa_reserve_flat_scratch 0
		.amdhsa_float_round_mode_32 0
		.amdhsa_float_round_mode_16_64 0
		.amdhsa_float_denorm_mode_32 3
		.amdhsa_float_denorm_mode_16_64 3
		.amdhsa_dx10_clamp 1
		.amdhsa_ieee_mode 1
		.amdhsa_fp16_overflow 0
		.amdhsa_workgroup_processor_mode 1
		.amdhsa_memory_ordered 1
		.amdhsa_forward_progress 1
		.amdhsa_shared_vgpr_count 0
		.amdhsa_exception_fp_ieee_invalid_op 0
		.amdhsa_exception_fp_denorm_src 0
		.amdhsa_exception_fp_ieee_div_zero 0
		.amdhsa_exception_fp_ieee_overflow 0
		.amdhsa_exception_fp_ieee_underflow 0
		.amdhsa_exception_fp_ieee_inexact 0
		.amdhsa_exception_int_div_zero 0
	.end_amdhsa_kernel
	.section	.text._ZL33flash_attn_stream_k_fixup_generalILi512ELi8ELi4EEvPfPK15HIP_vector_typeIfLj2EEiiiiS1_IjLj3EES5_S5_S5_,"axG",@progbits,_ZL33flash_attn_stream_k_fixup_generalILi512ELi8ELi4EEvPfPK15HIP_vector_typeIfLj2EEiiiiS1_IjLj3EES5_S5_S5_,comdat
.Lfunc_end12:
	.size	_ZL33flash_attn_stream_k_fixup_generalILi512ELi8ELi4EEvPfPK15HIP_vector_typeIfLj2EEiiiiS1_IjLj3EES5_S5_S5_, .Lfunc_end12-_ZL33flash_attn_stream_k_fixup_generalILi512ELi8ELi4EEvPfPK15HIP_vector_typeIfLj2EEiiiiS1_IjLj3EES5_S5_S5_
                                        ; -- End function
	.set _ZL33flash_attn_stream_k_fixup_generalILi512ELi8ELi4EEvPfPK15HIP_vector_typeIfLj2EEiiiiS1_IjLj3EES5_S5_S5_.num_vgpr, 17
	.set _ZL33flash_attn_stream_k_fixup_generalILi512ELi8ELi4EEvPfPK15HIP_vector_typeIfLj2EEiiiiS1_IjLj3EES5_S5_S5_.num_agpr, 0
	.set _ZL33flash_attn_stream_k_fixup_generalILi512ELi8ELi4EEvPfPK15HIP_vector_typeIfLj2EEiiiiS1_IjLj3EES5_S5_S5_.numbered_sgpr, 31
	.set _ZL33flash_attn_stream_k_fixup_generalILi512ELi8ELi4EEvPfPK15HIP_vector_typeIfLj2EEiiiiS1_IjLj3EES5_S5_S5_.num_named_barrier, 0
	.set _ZL33flash_attn_stream_k_fixup_generalILi512ELi8ELi4EEvPfPK15HIP_vector_typeIfLj2EEiiiiS1_IjLj3EES5_S5_S5_.private_seg_size, 0
	.set _ZL33flash_attn_stream_k_fixup_generalILi512ELi8ELi4EEvPfPK15HIP_vector_typeIfLj2EEiiiiS1_IjLj3EES5_S5_S5_.uses_vcc, 1
	.set _ZL33flash_attn_stream_k_fixup_generalILi512ELi8ELi4EEvPfPK15HIP_vector_typeIfLj2EEiiiiS1_IjLj3EES5_S5_S5_.uses_flat_scratch, 0
	.set _ZL33flash_attn_stream_k_fixup_generalILi512ELi8ELi4EEvPfPK15HIP_vector_typeIfLj2EEiiiiS1_IjLj3EES5_S5_S5_.has_dyn_sized_stack, 0
	.set _ZL33flash_attn_stream_k_fixup_generalILi512ELi8ELi4EEvPfPK15HIP_vector_typeIfLj2EEiiiiS1_IjLj3EES5_S5_S5_.has_recursion, 0
	.set _ZL33flash_attn_stream_k_fixup_generalILi512ELi8ELi4EEvPfPK15HIP_vector_typeIfLj2EEiiiiS1_IjLj3EES5_S5_S5_.has_indirect_call, 0
	.section	.AMDGPU.csdata,"",@progbits
; Kernel info:
; codeLenInByte = 2944
; TotalNumSgprs: 33
; NumVgprs: 17
; ScratchSize: 0
; MemoryBound: 0
; FloatMode: 240
; IeeeMode: 1
; LDSByteSize: 0 bytes/workgroup (compile time only)
; SGPRBlocks: 0
; VGPRBlocks: 2
; NumSGPRsForWavesPerEU: 33
; NumVGPRsForWavesPerEU: 17
; Occupancy: 16
; WaveLimiterHint : 0
; COMPUTE_PGM_RSRC2:SCRATCH_EN: 0
; COMPUTE_PGM_RSRC2:USER_SGPR: 6
; COMPUTE_PGM_RSRC2:TRAP_HANDLER: 0
; COMPUTE_PGM_RSRC2:TGID_X_EN: 1
; COMPUTE_PGM_RSRC2:TGID_Y_EN: 1
; COMPUTE_PGM_RSRC2:TGID_Z_EN: 1
; COMPUTE_PGM_RSRC2:TIDIG_COMP_CNT: 0
	.section	.text._ZL15flash_attn_tileILi576ELi512ELi4ELi4ELb0EEvPKcS1_S1_S1_S1_PKiPfP15HIP_vector_typeIfLj2EEffffjfiS5_IjLj3EEiiiiiiiiiiiliiliiiiil,"axG",@progbits,_ZL15flash_attn_tileILi576ELi512ELi4ELi4ELb0EEvPKcS1_S1_S1_S1_PKiPfP15HIP_vector_typeIfLj2EEffffjfiS5_IjLj3EEiiiiiiiiiiiliiliiiiil,comdat
	.globl	_ZL15flash_attn_tileILi576ELi512ELi4ELi4ELb0EEvPKcS1_S1_S1_S1_PKiPfP15HIP_vector_typeIfLj2EEffffjfiS5_IjLj3EEiiiiiiiiiiiliiliiiiil ; -- Begin function _ZL15flash_attn_tileILi576ELi512ELi4ELi4ELb0EEvPKcS1_S1_S1_S1_PKiPfP15HIP_vector_typeIfLj2EEffffjfiS5_IjLj3EEiiiiiiiiiiiliiliiiiil
	.p2align	8
	.type	_ZL15flash_attn_tileILi576ELi512ELi4ELi4ELb0EEvPKcS1_S1_S1_S1_PKiPfP15HIP_vector_typeIfLj2EEffffjfiS5_IjLj3EEiiiiiiiiiiiliiliiiiil,@function
_ZL15flash_attn_tileILi576ELi512ELi4ELi4ELb0EEvPKcS1_S1_S1_S1_PKiPfP15HIP_vector_typeIfLj2EEffffjfiS5_IjLj3EEiiiiiiiiiiiliiliiiiil: ; @_ZL15flash_attn_tileILi576ELi512ELi4ELi4ELb0EEvPKcS1_S1_S1_S1_PKiPfP15HIP_vector_typeIfLj2EEffffjfiS5_IjLj3EEiiiiiiiiiiiliiliiiiil
; %bb.0:
	s_clause 0x1
	s_load_dwordx4 s[24:27], s[4:5], 0x5c
	s_load_dwordx2 s[30:31], s[4:5], 0x80
	s_mov_b32 s28, s7
	s_mov_b64 s[34:35], 0
	s_waitcnt lgkmcnt(0)
	s_ashr_i32 s0, s27, 31
	s_lshr_b32 s0, s0, 30
	s_add_i32 s0, s27, s0
	s_ashr_i32 s0, s0, 2
	v_cvt_f32_u32_e32 v2, s0
	s_sub_i32 s2, 0, s0
	v_rcp_iflag_f32_e32 v2, v2
	v_mul_f32_e32 v2, 0x4f7ffffe, v2
	v_cvt_u32_f32_e32 v2, v2
	v_readfirstlane_b32 s1, v2
	s_mul_i32 s2, s2, s1
	s_mul_hi_u32 s2, s1, s2
	s_add_i32 s1, s1, s2
	s_mul_hi_u32 s1, s8, s1
	s_mul_i32 s2, s1, s0
	s_add_i32 s3, s1, 1
	s_sub_i32 s2, s8, s2
	s_sub_i32 s7, s2, s0
	s_cmp_ge_u32 s2, s0
	s_cselect_b32 s1, s3, s1
	s_cselect_b32 s2, s7, s2
	s_add_i32 s3, s1, 1
	s_cmp_ge_u32 s2, s0
	s_cselect_b32 s33, s3, s1
	s_abs_i32 s0, s31
	s_lshl_b32 s3, s8, 2
	v_cvt_f32_u32_e32 v2, s0
	s_sub_i32 s2, 0, s0
	s_abs_i32 s8, s27
	s_mul_i32 s7, s33, s27
	v_rcp_iflag_f32_e32 v2, v2
	s_sub_i32 s29, s3, s7
	v_mul_f32_e32 v2, 0x4f7ffffe, v2
	v_cvt_u32_f32_e32 v2, v2
	v_readfirstlane_b32 s1, v2
	s_mul_i32 s2, s2, s1
	s_mul_hi_u32 s2, s1, s2
	s_add_i32 s1, s1, s2
	s_xor_b32 s2, s27, s31
	s_mul_hi_u32 s1, s8, s1
	s_ashr_i32 s2, s2, 31
	s_mul_i32 s3, s1, s0
	s_add_i32 s7, s1, 1
	s_sub_i32 s3, s8, s3
	s_sub_i32 s8, s3, s0
	s_cmp_ge_u32 s3, s0
	s_cselect_b32 s1, s7, s1
	s_cselect_b32 s3, s8, s3
	s_add_i32 s7, s1, 1
	s_cmp_ge_u32 s3, s0
	s_clause 0x1
	s_load_dwordx16 s[8:23], s[4:5], 0x0
	s_load_dwordx2 s[36:37], s[4:5], 0xb8
	s_cselect_b32 s0, s7, s1
	s_xor_b32 s0, s0, s2
	s_sub_i32 s31, s0, s2
	s_abs_i32 s7, s31
	v_cvt_f32_u32_e32 v2, s7
	v_rcp_iflag_f32_e32 v2, v2
	s_waitcnt lgkmcnt(0)
	s_cmp_eq_u64 s[14:15], 0
	v_mul_f32_e32 v2, 0x4f7ffffe, v2
	v_cvt_u32_f32_e32 v2, v2
	v_readfirstlane_b32 s38, v2
	s_cbranch_scc1 .LBB13_2
; %bb.1:
	s_abs_i32 s2, s36
	s_abs_i32 s3, s33
	v_cvt_f32_u32_e32 v2, s2
	s_sub_i32 s1, 0, s2
	v_rcp_iflag_f32_e32 v2, v2
	v_mul_f32_e32 v2, 0x4f7ffffe, v2
	v_cvt_u32_f32_e32 v2, v2
	v_readfirstlane_b32 s0, v2
	s_mul_i32 s1, s1, s0
	s_mul_hi_u32 s1, s0, s1
	s_add_i32 s0, s0, s1
	s_mul_hi_u32 s34, s3, s0
	s_load_dwordx2 s[0:1], s[4:5], 0xc8
	s_mul_i32 s34, s34, s2
	s_sub_i32 s3, s3, s34
	s_ashr_i32 s34, s33, 31
	s_sub_i32 s35, s3, s2
	s_cmp_ge_u32 s3, s2
	s_cselect_b32 s3, s35, s3
	s_sub_i32 s35, s3, s2
	s_cmp_ge_u32 s3, s2
	s_cselect_b32 s2, s35, s3
	s_xor_b32 s2, s2, s34
	s_sub_i32 s2, s2, s34
	s_ashr_i32 s3, s2, 31
	s_waitcnt lgkmcnt(0)
	s_mul_hi_u32 s34, s0, s2
	s_mul_i32 s3, s0, s3
	s_mul_i32 s1, s1, s2
	s_add_i32 s3, s34, s3
	s_mul_i32 s0, s0, s2
	s_add_i32 s3, s3, s1
	s_add_u32 s34, s14, s0
	s_addc_u32 s35, s15, s3
.LBB13_2:
	v_lshrrev_b32_e32 v2, 1, v1
	s_load_dwordx4 s[0:3], s[4:5], 0x70
	v_lshlrev_b32_e32 v7, 1, v1
	v_lshlrev_b32_e32 v10, 4, v0
	v_mul_u32_u24_e32 v31, 0x900, v1
	v_lshl_add_u32 v2, s6, 2, v2
	v_and_b32_e32 v29, 2, v7
	v_mul_hi_u32 v3, s24, v2
	v_add_nc_u32_e32 v3, v2, v3
	s_waitcnt lgkmcnt(0)
	s_mul_i32 s3, s33, s2
	s_mul_i32 s14, s29, s1
	v_lshrrev_b32_e32 v3, s25, v3
	s_ashr_i32 s15, s3, 31
	s_add_u32 s3, s8, s3
	s_addc_u32 s8, s9, s15
	s_ashr_i32 s9, s14, 31
	v_mul_lo_u32 v3, v3, s26
	s_add_u32 s14, s3, s14
	s_mov_b32 s2, s1
	s_addc_u32 s15, s8, s9
	s_ashr_i32 s3, s1, 31
	s_ashr_i32 s1, s0, 31
	s_lshr_b64 s[8:9], s[0:1], 2
	v_sub_nc_u32_e32 v5, v2, v3
	s_lshr_b32 s0, s1, 2
	s_load_dword s1, s[4:5], 0x40
	v_mad_u64_u32 v[3:4], null, s8, v5, 0
	v_mad_u64_u32 v[8:9], null, s0, v5, v[4:5]
	s_lshr_b32 s0, s3, 2
	s_lshr_b64 s[2:3], s[2:3], 2
	v_mul_lo_u32 v6, s0, v29
	v_mov_b32_e32 v4, v8
	v_mad_u64_u32 v[8:9], null, s2, v29, 0
	v_lshlrev_b64 v[3:4], 2, v[3:4]
	v_or_b32_e32 v9, v9, v6
	v_add_co_u32 v6, vcc_lo, s14, v3
	v_add_co_ci_u32_e64 v11, null, s15, v4, vcc_lo
	v_lshlrev_b64 v[3:4], 2, v[8:9]
	v_add_co_u32 v8, vcc_lo, v6, v10
	v_add_co_ci_u32_e64 v9, null, 0, v11, vcc_lo
	v_lshlrev_b32_e32 v6, 3, v0
	v_add_co_u32 v3, vcc_lo, v8, v3
	v_add_co_ci_u32_e64 v4, null, v9, v4, vcc_lo
	v_mad_u32_u24 v26, 0x900, v1, v6
	v_cmp_gt_u32_e32 vcc_lo, 16, v0
	s_clause 0x3
	global_load_dwordx4 v[10:13], v[3:4], off
	global_load_dwordx4 v[14:17], v[3:4], off offset:512
	global_load_dwordx4 v[18:21], v[3:4], off offset:1024
	;; [unrolled: 1-line block ×3, first 2 shown]
	s_waitcnt vmcnt(3) lgkmcnt(0)
	v_fma_mixlo_f16 v10, s1, v10, 0
	v_fma_mixlo_f16 v11, s1, v11, 0
	;; [unrolled: 1-line block ×4, first 2 shown]
	s_waitcnt vmcnt(2)
	v_fma_mixlo_f16 v14, s1, v14, 0
	v_fma_mixlo_f16 v15, s1, v15, 0
	v_fma_mixlo_f16 v16, s1, v16, 0
	v_fma_mixlo_f16 v17, s1, v17, 0
	s_waitcnt vmcnt(1)
	v_fma_mixlo_f16 v18, s1, v18, 0
	v_fma_mixlo_f16 v19, s1, v19, 0
	s_waitcnt vmcnt(0)
	v_fma_mixlo_f16 v22, s1, v22, 0
	v_fma_mixlo_f16 v23, s1, v23, 0
	v_lshlrev_b32_e32 v11, 16, v11
	v_and_b32_e32 v10, 0xffff, v10
	v_lshlrev_b32_e32 v13, 16, v13
	v_and_b32_e32 v12, 0xffff, v12
	;; [unrolled: 2-line block ×3, first 2 shown]
	v_fma_mixlo_f16 v20, s1, v20, 0
	v_fma_mixlo_f16 v21, s1, v21, 0
	;; [unrolled: 1-line block ×4, first 2 shown]
	v_lshlrev_b32_e32 v17, 16, v17
	v_and_b32_e32 v16, 0xffff, v16
	v_lshlrev_b32_e32 v19, 16, v19
	v_and_b32_e32 v18, 0xffff, v18
	;; [unrolled: 2-line block ×3, first 2 shown]
	v_or_b32_e32 v10, v11, v10
	v_or3_b32 v11, v13, v12, 0
	v_or_b32_e32 v12, v15, v14
	v_lshlrev_b32_e32 v21, 16, v21
	v_and_b32_e32 v20, 0xffff, v20
	v_lshlrev_b32_e32 v25, 16, v25
	v_and_b32_e32 v24, 0xffff, v24
	v_or3_b32 v13, v17, v16, 0
	v_or_b32_e32 v14, v19, v18
	v_or_b32_e32 v16, v23, v22
	v_or3_b32 v10, 0, 0, v10
	v_or3_b32 v12, 0, 0, v12
	;; [unrolled: 1-line block ×6, first 2 shown]
	ds_write2_b64 v26, v[10:11], v[12:13] offset1:32
	ds_write2_b64 v26, v[14:15], v[16:17] offset0:64 offset1:96
	s_and_saveexec_b32 s8, vcc_lo
	s_cbranch_execz .LBB13_4
; %bb.3:
	v_add_co_u32 v3, s0, 0x800, v3
	v_add_co_ci_u32_e64 v4, null, 0, v4, s0
	global_load_dwordx4 v[10:13], v[3:4], off
	s_waitcnt vmcnt(0)
	v_fma_mixlo_f16 v3, s1, v11, 0
	v_fma_mixlo_f16 v4, s1, v10, 0
	;; [unrolled: 1-line block ×4, first 2 shown]
	v_lshlrev_b32_e32 v3, 16, v3
	v_and_b32_e32 v4, 0xffff, v4
	v_and_b32_e32 v10, 0xffff, v10
	v_lshlrev_b32_e32 v11, 16, v11
	v_or_b32_e32 v3, v3, v4
	v_or3_b32 v4, v11, v10, 0
	v_add_nc_u32_e32 v10, v6, v31
	v_or3_b32 v3, 0, 0, v3
	ds_write_b64 v10, v[3:4] offset:1024
.LBB13_4:
	s_or_b32 exec_lo, exec_lo, s8
	v_or_b32_e32 v7, 1, v7
	v_and_b32_e32 v10, 3, v7
	v_mad_u32_u24 v24, 0x480, v7, v6
	v_mad_u64_u32 v[3:4], null, s2, v10, 0
	v_mad_u64_u32 v[10:11], null, s3, v10, v[4:5]
	v_mov_b32_e32 v4, v10
	v_lshlrev_b64 v[3:4], 2, v[3:4]
	v_add_co_u32 v3, s0, v8, v3
	v_add_co_ci_u32_e64 v4, null, v9, v4, s0
	s_clause 0x3
	global_load_dwordx4 v[8:11], v[3:4], off
	global_load_dwordx4 v[12:15], v[3:4], off offset:512
	global_load_dwordx4 v[16:19], v[3:4], off offset:1024
	;; [unrolled: 1-line block ×3, first 2 shown]
	s_waitcnt vmcnt(3)
	v_fma_mixlo_f16 v8, s1, v8, 0
	v_fma_mixlo_f16 v9, s1, v9, 0
	;; [unrolled: 1-line block ×4, first 2 shown]
	s_waitcnt vmcnt(2)
	v_fma_mixlo_f16 v12, s1, v12, 0
	v_fma_mixlo_f16 v13, s1, v13, 0
	;; [unrolled: 1-line block ×4, first 2 shown]
	s_waitcnt vmcnt(1)
	v_fma_mixlo_f16 v16, s1, v16, 0
	v_fma_mixlo_f16 v17, s1, v17, 0
	s_waitcnt vmcnt(0)
	v_fma_mixlo_f16 v20, s1, v20, 0
	v_fma_mixlo_f16 v21, s1, v21, 0
	v_lshlrev_b32_e32 v9, 16, v9
	v_and_b32_e32 v8, 0xffff, v8
	v_lshlrev_b32_e32 v11, 16, v11
	v_and_b32_e32 v10, 0xffff, v10
	;; [unrolled: 2-line block ×3, first 2 shown]
	v_fma_mixlo_f16 v18, s1, v18, 0
	v_fma_mixlo_f16 v19, s1, v19, 0
	;; [unrolled: 1-line block ×4, first 2 shown]
	v_lshlrev_b32_e32 v15, 16, v15
	v_and_b32_e32 v14, 0xffff, v14
	v_lshlrev_b32_e32 v17, 16, v17
	v_and_b32_e32 v16, 0xffff, v16
	;; [unrolled: 2-line block ×3, first 2 shown]
	v_or_b32_e32 v8, v9, v8
	v_or3_b32 v9, v11, v10, 0
	v_or_b32_e32 v10, v13, v12
	v_lshlrev_b32_e32 v19, 16, v19
	v_and_b32_e32 v18, 0xffff, v18
	v_lshlrev_b32_e32 v23, 16, v23
	v_and_b32_e32 v22, 0xffff, v22
	v_or3_b32 v11, v15, v14, 0
	v_or_b32_e32 v12, v17, v16
	v_or_b32_e32 v14, v21, v20
	v_or3_b32 v8, 0, 0, v8
	v_or3_b32 v10, 0, 0, v10
	;; [unrolled: 1-line block ×6, first 2 shown]
	ds_write2_b64 v24, v[8:9], v[10:11] offset1:32
	ds_write2_b64 v24, v[12:13], v[14:15] offset0:64 offset1:96
	s_and_saveexec_b32 s0, vcc_lo
	s_cbranch_execz .LBB13_6
; %bb.5:
	v_add_co_u32 v3, vcc_lo, 0x800, v3
	v_add_co_ci_u32_e64 v4, null, 0, v4, vcc_lo
	v_mul_u32_u24_e32 v7, 0x480, v7
	global_load_dwordx4 v[8:11], v[3:4], off
	v_add_nc_u32_e32 v7, v6, v7
	s_waitcnt vmcnt(0)
	v_fma_mixlo_f16 v3, s1, v9, 0
	v_fma_mixlo_f16 v4, s1, v8, 0
	;; [unrolled: 1-line block ×4, first 2 shown]
	v_lshlrev_b32_e32 v3, 16, v3
	v_and_b32_e32 v4, 0xffff, v4
	v_and_b32_e32 v8, 0xffff, v8
	v_lshlrev_b32_e32 v9, 16, v9
	v_or_b32_e32 v3, v3, v4
	v_or3_b32 v4, v9, v8, 0
	v_or3_b32 v3, 0, 0, v3
	ds_write_b64 v7, v[3:4] offset:1024
.LBB13_6:
	s_or_b32 exec_lo, exec_lo, s0
	s_cmp_eq_u64 s[18:19], 0
	s_waitcnt lgkmcnt(0)
	s_barrier
	buffer_gl0_inv
	s_cbranch_scc1 .LBB13_8
; %bb.7:
	s_load_dword s0, s[4:5], 0xd0
	s_mov_b32 s1, 0
	s_waitcnt lgkmcnt(0)
	s_mul_i32 s0, s0, s33
	s_add_i32 s0, s0, s6
	s_lshl_b64 s[0:1], s[0:1], 2
	s_add_u32 s0, s18, s0
	s_addc_u32 s1, s19, s1
	s_load_dword s30, s[0:1], 0x0
.LBB13_8:
	v_lshlrev_b32_e32 v30, 2, v0
	v_mbcnt_lo_u32_b32 v32, -1, 0
	s_lshl_b32 s24, s28, 6
	s_waitcnt lgkmcnt(0)
	s_cmp_lt_i32 s24, s30
	s_cbranch_scc1 .LBB13_11
; %bb.9:
	v_mbcnt_lo_u32_b32 v4, -1, 0
	v_mov_b32_e32 v3, 32
	v_xor_b32_e32 v37, 16, v4
	v_xor_b32_e32 v36, 8, v4
	;; [unrolled: 1-line block ×5, first 2 shown]
	s_cbranch_execz .LBB13_12
; %bb.10:
	v_mov_b32_e32 v62, 0
	v_mov_b32_e32 v10, 0
	;; [unrolled: 1-line block ×20, first 2 shown]
	s_branch .LBB13_15
.LBB13_11:
                                        ; implicit-def: $vgpr4
                                        ; implicit-def: $vgpr3
                                        ; implicit-def: $vgpr37
                                        ; implicit-def: $vgpr36
                                        ; implicit-def: $vgpr35
                                        ; implicit-def: $vgpr34
                                        ; implicit-def: $vgpr33
.LBB13_12:
	s_clause 0x1
	s_load_dwordx4 s[0:3], s[4:5], 0x98
	s_load_dwordx2 s[8:9], s[4:5], 0x8c
	s_sub_i32 s6, 0, s7
	s_abs_i32 s18, s29
	s_mul_i32 s6, s6, s38
	s_ashr_i32 s36, s31, 31
	s_mul_hi_u32 s6, s38, s6
	s_ashr_i32 s19, s29, 31
	s_add_i32 s38, s38, s6
	s_ashr_i32 s6, s37, 1
	s_mul_hi_u32 s37, s18, s38
	s_ashr_i32 s38, s33, 31
	s_load_dwordx2 s[14:15], s[4:5], 0xa8
	s_mul_i32 s39, s37, s7
	v_lshrrev_b32_e32 v3, 3, v0
	v_and_b32_e32 v14, 28, v30
	v_lshlrev_b32_e32 v13, 2, v30
	v_or_b32_e32 v43, 0x4800, v6
	v_mov_b32_e32 v52, 0
	v_lshl_add_u32 v3, v1, 2, v3
	s_waitcnt lgkmcnt(0)
	s_ashr_i32 s25, s2, 2
	s_ashr_i32 s31, s8, 2
	s_mul_hi_u32 s2, s0, s33
	s_mul_i32 s8, s0, s38
	s_mul_i32 s1, s1, s33
	s_add_i32 s2, s2, s8
	s_mul_i32 s0, s0, s33
	s_add_i32 s2, s2, s1
	s_add_u32 s0, s10, s0
	s_addc_u32 s1, s11, s2
	s_sub_i32 s8, s18, s39
	s_xor_b32 s2, s19, s36
	s_add_i32 s10, s37, 1
	s_sub_i32 s11, s8, s7
	s_cmp_ge_u32 s8, s7
	v_lshlrev_b32_e32 v4, 2, v14
	s_cselect_b32 s10, s10, s37
	s_cselect_b32 s8, s11, s8
	s_add_i32 s11, s10, 1
	s_cmp_ge_u32 s8, s7
	v_mul_lo_u32 v7, s31, v3
	v_mad_u32_u24 v10, 0x90, v3, v4
	v_mul_lo_u32 v3, s25, v1
	s_cselect_b32 s7, s11, s10
	s_mul_hi_u32 s8, s14, s33
	s_xor_b32 s7, s7, s2
	s_mul_i32 s10, s15, s33
	s_sub_i32 s2, s7, s2
	s_mul_i32 s7, s14, s38
	s_mul_i32 s9, s2, s9
	v_ashrrev_i32_e32 v4, 31, v3
	s_ashr_i32 s11, s9, 31
	s_add_u32 s36, s0, s9
	s_addc_u32 s37, s1, s11
	s_add_i32 s0, s8, s7
	s_mul_i32 s1, s14, s33
	v_lshlrev_b64 v[11:12], 2, v[3:4]
	s_add_i32 s0, s0, s10
	s_mul_i32 s2, s2, s3
	s_add_u32 s1, s12, s1
	s_addc_u32 s0, s13, s0
	s_ashr_i32 s3, s2, 31
	v_lshl_add_u32 v9, s31, 5, v7
	s_add_u32 s1, s1, s2
	v_mad_u64_u32 v[3:4], null, v5, s6, v[0:1]
	s_addc_u32 s0, s0, s3
	v_add_co_u32 v4, vcc_lo, s1, v11
	v_add_nc_u32_e32 v38, 0x4800, v10
	v_ashrrev_i32_e32 v8, 31, v7
	v_add_nc_u32_e32 v39, 0x5a00, v10
	v_ashrrev_i32_e32 v10, 31, v9
	v_add_co_ci_u32_e64 v5, null, s0, v12, vcc_lo
	v_lshl_add_u32 v15, v1, 10, v13
	v_lshl_add_u32 v1, v1, 8, 0x6c00
	v_add_co_u32 v44, vcc_lo, v4, v13
	s_movk_i32 s2, 0x4800
	v_add_co_ci_u32_e64 v45, null, 0, v5, vcc_lo
	v_lshlrev_b64 v[4:5], 2, v[7:8]
	v_lshlrev_b64 v[6:7], 2, v[9:10]
	v_mad_u32_u24 v40, 0x90, v0, s2
	v_add_nc_u32_e32 v41, 0x4800, v15
	v_add_nc_u32_e32 v42, 0x4a00, v15
	v_mov_b32_e32 v13, 0xfeffffff
	v_lshlrev_b32_e32 v46, 2, v14
	v_xor_b32_e32 v37, 16, v32
	v_xor_b32_e32 v36, 8, v32
	;; [unrolled: 1-line block ×5, first 2 shown]
	v_add_nc_u32_e32 v47, v1, v30
	v_mov_b32_e32 v48, 0x10001
	v_add_nc_u32_e32 v49, 0x800, v43
	v_add_nc_u32_e32 v50, 0x1000, v43
	;; [unrolled: 1-line block ×3, first 2 shown]
	v_mov_b32_e32 v53, 0
	v_mov_b32_e32 v56, 0
	;; [unrolled: 1-line block ×18, first 2 shown]
	s_add_u32 s14, s4, 0xd0
	s_addc_u32 s15, s5, 0
.LBB13_13:                              ; =>This Inner Loop Header: Depth=1
	s_mul_hi_i32 s7, s24, s31
	s_mul_i32 s6, s24, s31
	v_cmp_gt_i32_e64 s0, 32, v36
	v_cmp_gt_i32_e32 vcc_lo, 32, v37
	v_cmp_gt_i32_e64 s2, 32, v34
	v_cmp_gt_i32_e64 s3, 32, v33
	s_lshl_b64 s[6:7], s[6:7], 2
	s_mul_hi_i32 s9, s24, s25
	s_add_u32 s6, s36, s6
	s_mul_i32 s8, s24, s25
	v_cndmask_b32_e64 v11, v32, v36, s0
	s_addc_u32 s42, s37, s7
	v_add_co_u32 v18, s0, s6, v4
	v_mov_b32_e32 v75, v10
	v_cndmask_b32_e32 v10, v32, v37, vcc_lo
	v_cndmask_b32_e64 v15, v32, v34, s2
	v_cndmask_b32_e64 v16, v32, v33, s3
	s_lshl_b64 s[2:3], s[8:9], 2
	s_or_b32 s8, s24, 8
	s_or_b32 s10, s24, 16
	v_add_co_u32 v17, vcc_lo, s6, v6
	v_add_co_ci_u32_e64 v26, null, s42, v5, s0
	s_mul_hi_i32 s7, s8, s25
	s_mul_i32 s6, s8, s25
	s_mul_hi_i32 s9, s10, s25
	s_mul_i32 s8, s10, s25
	v_add_co_ci_u32_e64 v81, null, s42, v7, vcc_lo
	s_lshl_b64 s[44:45], s[8:9], 2
	v_add_co_u32 v27, s9, v18, v46
	v_add_co_u32 v25, s0, v17, v46
	v_add_co_ci_u32_e64 v28, null, 0, v26, s9
	v_add_co_ci_u32_e64 v26, null, 0, v81, s0
	s_clause 0x1
	global_load_dwordx4 v[81:84], v[27:28], off
	global_load_dwordx4 v[85:88], v[25:26], off
	v_mov_b32_e32 v71, 0
	v_mov_b32_e32 v72, 0
	v_mov_b32_e32 v73, 0
	v_mov_b32_e32 v74, 0
	v_add_nc_u32_e32 v8, s24, v3
	v_mov_b32_e32 v68, v23
	v_cmp_gt_i32_e64 s1, 32, v35
	v_mov_b32_e32 v70, v13
	v_mov_b32_e32 v69, v14
	v_ashrrev_i32_e32 v9, 31, v8
	v_lshlrev_b32_e32 v80, 2, v10
	v_cndmask_b32_e64 v12, v32, v35, s1
	v_add_co_u32 v13, s1, v44, s2
	v_lshlrev_b64 v[23:24], 1, v[8:9]
	v_add_co_ci_u32_e64 v14, null, s3, v45, s1
	v_lshlrev_b32_e32 v79, 2, v11
	v_lshlrev_b32_e32 v78, 2, v12
	;; [unrolled: 1-line block ×3, first 2 shown]
	v_add_co_u32 v23, s0, s34, v23
	v_add_co_ci_u32_e64 v24, null, s35, v24, s0
	v_lshlrev_b32_e32 v76, 2, v16
	s_or_b32 s12, s24, 24
	s_or_b32 s18, s24, 32
	;; [unrolled: 1-line block ×5, first 2 shown]
	s_mul_hi_i32 s11, s12, s25
	s_mul_i32 s10, s12, s25
	s_mul_hi_i32 s13, s18, s25
	s_mul_i32 s12, s18, s25
	;; [unrolled: 2-line block ×5, first 2 shown]
	s_lshl_b64 s[42:43], s[6:7], 2
	s_lshl_b64 s[10:11], s[10:11], 2
	;; [unrolled: 1-line block ×5, first 2 shown]
	v_add_co_u32 v21, s1, v44, s42
	v_add_co_u32 v19, s2, v44, s44
	;; [unrolled: 1-line block ×6, first 2 shown]
	v_add_co_ci_u32_e64 v22, null, s43, v45, s1
	v_add_co_ci_u32_e64 v20, null, s45, v45, s2
	v_add_co_ci_u32_e64 v18, null, s11, v45, s3
	v_add_co_ci_u32_e64 v16, null, s13, v45, s6
	v_add_co_ci_u32_e64 v12, null, s47, v45, s7
	v_add_co_ci_u32_e64 v10, null, s39, v45, s8
	s_lshl_b64 s[18:19], s[40:41], 2
	s_waitcnt vmcnt(1)
	ds_write_b128 v38, v[81:84]
	s_waitcnt vmcnt(0)
	ds_write_b128 v39, v[85:88]
	s_waitcnt lgkmcnt(0)
	s_barrier
	buffer_gl0_inv
	ds_read_b128 v[81:84], v40
	ds_read_b128 v[85:88], v31
	ds_read_b128 v[89:92], v31 offset:1152
	ds_read_b128 v[93:96], v40 offset:4608
	s_waitcnt lgkmcnt(2)
	;;#ASMSTART
	v_dot2_f32_f16 v71, v81, v85, v71
	;;#ASMEND
	;;#ASMSTART
	v_dot2_f32_f16 v71, v82, v86, v71
	;;#ASMEND
	;;#ASMSTART
	v_dot2_f32_f16 v71, v83, v87, v71
	;;#ASMEND
	;;#ASMSTART
	v_dot2_f32_f16 v71, v84, v88, v71
	;;#ASMEND
	s_waitcnt lgkmcnt(1)
	;;#ASMSTART
	v_dot2_f32_f16 v72, v81, v89, v72
	;;#ASMEND
	;;#ASMSTART
	v_dot2_f32_f16 v72, v82, v90, v72
	;;#ASMEND
	;;#ASMSTART
	v_dot2_f32_f16 v72, v83, v91, v72
	;;#ASMEND
	;;#ASMSTART
	v_dot2_f32_f16 v72, v84, v92, v72
	;;#ASMEND
	s_waitcnt lgkmcnt(0)
	;;#ASMSTART
	v_dot2_f32_f16 v73, v93, v85, v73
	;;#ASMEND
	;;#ASMSTART
	v_dot2_f32_f16 v73, v94, v86, v73
	;;#ASMEND
	;;#ASMSTART
	v_dot2_f32_f16 v73, v95, v87, v73
	;;#ASMEND
	;;#ASMSTART
	v_dot2_f32_f16 v73, v96, v88, v73
	;;#ASMEND
	;;#ASMSTART
	v_dot2_f32_f16 v74, v93, v89, v74
	;;#ASMEND
	;;#ASMSTART
	v_dot2_f32_f16 v74, v94, v90, v74
	;;#ASMEND
	;;#ASMSTART
	v_dot2_f32_f16 v74, v95, v91, v74
	;;#ASMEND
	;;#ASMSTART
	v_dot2_f32_f16 v74, v96, v92, v74
	;;#ASMEND
	ds_read_b128 v[81:84], v40 offset:16
	ds_read_b128 v[85:88], v31 offset:16
	ds_read_b128 v[89:92], v31 offset:1168
	ds_read_b128 v[93:96], v40 offset:4624
	s_waitcnt lgkmcnt(2)
	;;#ASMSTART
	v_dot2_f32_f16 v71, v81, v85, v71
	;;#ASMEND
	;;#ASMSTART
	v_dot2_f32_f16 v71, v82, v86, v71
	;;#ASMEND
	;;#ASMSTART
	v_dot2_f32_f16 v71, v83, v87, v71
	;;#ASMEND
	;;#ASMSTART
	v_dot2_f32_f16 v71, v84, v88, v71
	;;#ASMEND
	s_waitcnt lgkmcnt(1)
	;;#ASMSTART
	v_dot2_f32_f16 v72, v81, v89, v72
	;;#ASMEND
	;;#ASMSTART
	v_dot2_f32_f16 v72, v82, v90, v72
	;;#ASMEND
	;;#ASMSTART
	v_dot2_f32_f16 v72, v83, v91, v72
	;;#ASMEND
	;;#ASMSTART
	v_dot2_f32_f16 v72, v84, v92, v72
	;;#ASMEND
	s_waitcnt lgkmcnt(0)
	;;#ASMSTART
	v_dot2_f32_f16 v73, v93, v85, v73
	;;#ASMEND
	;;#ASMSTART
	v_dot2_f32_f16 v73, v94, v86, v73
	;;#ASMEND
	;;#ASMSTART
	v_dot2_f32_f16 v73, v95, v87, v73
	;;#ASMEND
	;;#ASMSTART
	v_dot2_f32_f16 v73, v96, v88, v73
	;;#ASMEND
	;;#ASMSTART
	v_dot2_f32_f16 v74, v93, v89, v74
	;;#ASMEND
	;;#ASMSTART
	v_dot2_f32_f16 v74, v94, v90, v74
	;;#ASMEND
	;;#ASMSTART
	v_dot2_f32_f16 v74, v95, v91, v74
	;;#ASMEND
	;;#ASMSTART
	v_dot2_f32_f16 v74, v96, v92, v74
	;;#ASMEND
	ds_read_b128 v[81:84], v40 offset:32
	ds_read_b128 v[85:88], v31 offset:32
	;; [unrolled: 55-line block ×7, first 2 shown]
	ds_read_b128 v[89:92], v31 offset:1264
	ds_read_b128 v[93:96], v40 offset:4720
	s_waitcnt lgkmcnt(2)
	;;#ASMSTART
	v_dot2_f32_f16 v71, v81, v85, v71
	;;#ASMEND
	;;#ASMSTART
	v_dot2_f32_f16 v71, v82, v86, v71
	;;#ASMEND
	;;#ASMSTART
	v_dot2_f32_f16 v71, v83, v87, v71
	;;#ASMEND
	;;#ASMSTART
	v_dot2_f32_f16 v71, v84, v88, v71
	;;#ASMEND
	s_waitcnt lgkmcnt(1)
	;;#ASMSTART
	v_dot2_f32_f16 v72, v81, v89, v72
	;;#ASMEND
	;;#ASMSTART
	v_dot2_f32_f16 v72, v82, v90, v72
	;;#ASMEND
	;;#ASMSTART
	v_dot2_f32_f16 v72, v83, v91, v72
	;;#ASMEND
	;;#ASMSTART
	v_dot2_f32_f16 v72, v84, v92, v72
	;;#ASMEND
	;; [unrolled: 13-line block ×3, first 2 shown]
	;;#ASMSTART
	v_dot2_f32_f16 v74, v93, v89, v74
	;;#ASMEND
	;;#ASMSTART
	v_dot2_f32_f16 v74, v94, v90, v74
	;;#ASMEND
	;; [unrolled: 3-line block ×4, first 2 shown]
	s_barrier
	buffer_gl0_inv
	s_clause 0x1
	global_load_dwordx4 v[81:84], v[27:28], off offset:128
	global_load_dwordx4 v[85:88], v[25:26], off offset:128
	v_add_co_u32 v8, vcc_lo, v44, s18
	s_waitcnt vmcnt(1)
	ds_write_b128 v38, v[81:84]
	s_waitcnt vmcnt(0)
	ds_write_b128 v39, v[85:88]
	s_waitcnt lgkmcnt(0)
	s_barrier
	buffer_gl0_inv
	ds_read_b128 v[81:84], v40
	ds_read_b128 v[85:88], v31 offset:128
	ds_read_b128 v[89:92], v31 offset:1280
	ds_read_b128 v[93:96], v40 offset:4608
	s_waitcnt lgkmcnt(2)
	;;#ASMSTART
	v_dot2_f32_f16 v71, v81, v85, v71
	;;#ASMEND
	;;#ASMSTART
	v_dot2_f32_f16 v71, v82, v86, v71
	;;#ASMEND
	;;#ASMSTART
	v_dot2_f32_f16 v71, v83, v87, v71
	;;#ASMEND
	;;#ASMSTART
	v_dot2_f32_f16 v71, v84, v88, v71
	;;#ASMEND
	s_waitcnt lgkmcnt(1)
	;;#ASMSTART
	v_dot2_f32_f16 v72, v81, v89, v72
	;;#ASMEND
	;;#ASMSTART
	v_dot2_f32_f16 v72, v82, v90, v72
	;;#ASMEND
	;;#ASMSTART
	v_dot2_f32_f16 v72, v83, v91, v72
	;;#ASMEND
	;;#ASMSTART
	v_dot2_f32_f16 v72, v84, v92, v72
	;;#ASMEND
	s_waitcnt lgkmcnt(0)
	;;#ASMSTART
	v_dot2_f32_f16 v73, v93, v85, v73
	;;#ASMEND
	;;#ASMSTART
	v_dot2_f32_f16 v73, v94, v86, v73
	;;#ASMEND
	;;#ASMSTART
	v_dot2_f32_f16 v73, v95, v87, v73
	;;#ASMEND
	;;#ASMSTART
	v_dot2_f32_f16 v73, v96, v88, v73
	;;#ASMEND
	;;#ASMSTART
	v_dot2_f32_f16 v74, v93, v89, v74
	;;#ASMEND
	;;#ASMSTART
	v_dot2_f32_f16 v74, v94, v90, v74
	;;#ASMEND
	;;#ASMSTART
	v_dot2_f32_f16 v74, v95, v91, v74
	;;#ASMEND
	;;#ASMSTART
	v_dot2_f32_f16 v74, v96, v92, v74
	;;#ASMEND
	ds_read_b128 v[81:84], v40 offset:16
	ds_read_b128 v[85:88], v31 offset:144
	ds_read_b128 v[89:92], v31 offset:1296
	ds_read_b128 v[93:96], v40 offset:4624
	s_waitcnt lgkmcnt(2)
	;;#ASMSTART
	v_dot2_f32_f16 v71, v81, v85, v71
	;;#ASMEND
	;;#ASMSTART
	v_dot2_f32_f16 v71, v82, v86, v71
	;;#ASMEND
	;;#ASMSTART
	v_dot2_f32_f16 v71, v83, v87, v71
	;;#ASMEND
	;;#ASMSTART
	v_dot2_f32_f16 v71, v84, v88, v71
	;;#ASMEND
	s_waitcnt lgkmcnt(1)
	;;#ASMSTART
	v_dot2_f32_f16 v72, v81, v89, v72
	;;#ASMEND
	;;#ASMSTART
	v_dot2_f32_f16 v72, v82, v90, v72
	;;#ASMEND
	;;#ASMSTART
	v_dot2_f32_f16 v72, v83, v91, v72
	;;#ASMEND
	;;#ASMSTART
	v_dot2_f32_f16 v72, v84, v92, v72
	;;#ASMEND
	s_waitcnt lgkmcnt(0)
	;;#ASMSTART
	v_dot2_f32_f16 v73, v93, v85, v73
	;;#ASMEND
	;;#ASMSTART
	v_dot2_f32_f16 v73, v94, v86, v73
	;;#ASMEND
	;;#ASMSTART
	v_dot2_f32_f16 v73, v95, v87, v73
	;;#ASMEND
	;;#ASMSTART
	v_dot2_f32_f16 v73, v96, v88, v73
	;;#ASMEND
	;;#ASMSTART
	v_dot2_f32_f16 v74, v93, v89, v74
	;;#ASMEND
	;;#ASMSTART
	v_dot2_f32_f16 v74, v94, v90, v74
	;;#ASMEND
	;;#ASMSTART
	v_dot2_f32_f16 v74, v95, v91, v74
	;;#ASMEND
	;;#ASMSTART
	v_dot2_f32_f16 v74, v96, v92, v74
	;;#ASMEND
	ds_read_b128 v[81:84], v40 offset:32
	;; [unrolled: 55-line block ×7, first 2 shown]
	ds_read_b128 v[85:88], v31 offset:240
	ds_read_b128 v[89:92], v31 offset:1392
	;; [unrolled: 1-line block ×3, first 2 shown]
	s_waitcnt lgkmcnt(2)
	;;#ASMSTART
	v_dot2_f32_f16 v71, v81, v85, v71
	;;#ASMEND
	;;#ASMSTART
	v_dot2_f32_f16 v71, v82, v86, v71
	;;#ASMEND
	;;#ASMSTART
	v_dot2_f32_f16 v71, v83, v87, v71
	;;#ASMEND
	;;#ASMSTART
	v_dot2_f32_f16 v71, v84, v88, v71
	;;#ASMEND
	s_waitcnt lgkmcnt(1)
	;;#ASMSTART
	v_dot2_f32_f16 v72, v81, v89, v72
	;;#ASMEND
	;;#ASMSTART
	v_dot2_f32_f16 v72, v82, v90, v72
	;;#ASMEND
	;;#ASMSTART
	v_dot2_f32_f16 v72, v83, v91, v72
	;;#ASMEND
	;;#ASMSTART
	v_dot2_f32_f16 v72, v84, v92, v72
	;;#ASMEND
	;; [unrolled: 13-line block ×3, first 2 shown]
	;;#ASMSTART
	v_dot2_f32_f16 v74, v93, v89, v74
	;;#ASMEND
	;;#ASMSTART
	v_dot2_f32_f16 v74, v94, v90, v74
	;;#ASMEND
	;; [unrolled: 3-line block ×4, first 2 shown]
	s_barrier
	buffer_gl0_inv
	s_clause 0x1
	global_load_dwordx4 v[81:84], v[27:28], off offset:256
	global_load_dwordx4 v[85:88], v[25:26], off offset:256
	s_waitcnt vmcnt(1)
	ds_write_b128 v38, v[81:84]
	s_waitcnt vmcnt(0)
	ds_write_b128 v39, v[85:88]
	s_waitcnt lgkmcnt(0)
	s_barrier
	buffer_gl0_inv
	ds_read_b128 v[81:84], v40
	ds_read_b128 v[85:88], v31 offset:256
	ds_read_b128 v[89:92], v31 offset:1408
	ds_read_b128 v[93:96], v40 offset:4608
	s_waitcnt lgkmcnt(2)
	;;#ASMSTART
	v_dot2_f32_f16 v71, v81, v85, v71
	;;#ASMEND
	;;#ASMSTART
	v_dot2_f32_f16 v71, v82, v86, v71
	;;#ASMEND
	;;#ASMSTART
	v_dot2_f32_f16 v71, v83, v87, v71
	;;#ASMEND
	;;#ASMSTART
	v_dot2_f32_f16 v71, v84, v88, v71
	;;#ASMEND
	s_waitcnt lgkmcnt(1)
	;;#ASMSTART
	v_dot2_f32_f16 v72, v81, v89, v72
	;;#ASMEND
	;;#ASMSTART
	v_dot2_f32_f16 v72, v82, v90, v72
	;;#ASMEND
	;;#ASMSTART
	v_dot2_f32_f16 v72, v83, v91, v72
	;;#ASMEND
	;;#ASMSTART
	v_dot2_f32_f16 v72, v84, v92, v72
	;;#ASMEND
	s_waitcnt lgkmcnt(0)
	;;#ASMSTART
	v_dot2_f32_f16 v73, v93, v85, v73
	;;#ASMEND
	;;#ASMSTART
	v_dot2_f32_f16 v73, v94, v86, v73
	;;#ASMEND
	;;#ASMSTART
	v_dot2_f32_f16 v73, v95, v87, v73
	;;#ASMEND
	;;#ASMSTART
	v_dot2_f32_f16 v73, v96, v88, v73
	;;#ASMEND
	;;#ASMSTART
	v_dot2_f32_f16 v74, v93, v89, v74
	;;#ASMEND
	;;#ASMSTART
	v_dot2_f32_f16 v74, v94, v90, v74
	;;#ASMEND
	;;#ASMSTART
	v_dot2_f32_f16 v74, v95, v91, v74
	;;#ASMEND
	;;#ASMSTART
	v_dot2_f32_f16 v74, v96, v92, v74
	;;#ASMEND
	ds_read_b128 v[81:84], v40 offset:16
	ds_read_b128 v[85:88], v31 offset:272
	ds_read_b128 v[89:92], v31 offset:1424
	ds_read_b128 v[93:96], v40 offset:4624
	s_waitcnt lgkmcnt(2)
	;;#ASMSTART
	v_dot2_f32_f16 v71, v81, v85, v71
	;;#ASMEND
	;;#ASMSTART
	v_dot2_f32_f16 v71, v82, v86, v71
	;;#ASMEND
	;;#ASMSTART
	v_dot2_f32_f16 v71, v83, v87, v71
	;;#ASMEND
	;;#ASMSTART
	v_dot2_f32_f16 v71, v84, v88, v71
	;;#ASMEND
	s_waitcnt lgkmcnt(1)
	;;#ASMSTART
	v_dot2_f32_f16 v72, v81, v89, v72
	;;#ASMEND
	;;#ASMSTART
	v_dot2_f32_f16 v72, v82, v90, v72
	;;#ASMEND
	;;#ASMSTART
	v_dot2_f32_f16 v72, v83, v91, v72
	;;#ASMEND
	;;#ASMSTART
	v_dot2_f32_f16 v72, v84, v92, v72
	;;#ASMEND
	s_waitcnt lgkmcnt(0)
	;;#ASMSTART
	v_dot2_f32_f16 v73, v93, v85, v73
	;;#ASMEND
	;;#ASMSTART
	v_dot2_f32_f16 v73, v94, v86, v73
	;;#ASMEND
	;;#ASMSTART
	v_dot2_f32_f16 v73, v95, v87, v73
	;;#ASMEND
	;;#ASMSTART
	v_dot2_f32_f16 v73, v96, v88, v73
	;;#ASMEND
	;;#ASMSTART
	v_dot2_f32_f16 v74, v93, v89, v74
	;;#ASMEND
	;;#ASMSTART
	v_dot2_f32_f16 v74, v94, v90, v74
	;;#ASMEND
	;;#ASMSTART
	v_dot2_f32_f16 v74, v95, v91, v74
	;;#ASMEND
	;;#ASMSTART
	v_dot2_f32_f16 v74, v96, v92, v74
	;;#ASMEND
	ds_read_b128 v[81:84], v40 offset:32
	;; [unrolled: 55-line block ×7, first 2 shown]
	ds_read_b128 v[85:88], v31 offset:368
	ds_read_b128 v[89:92], v31 offset:1520
	;; [unrolled: 1-line block ×3, first 2 shown]
	s_waitcnt lgkmcnt(2)
	;;#ASMSTART
	v_dot2_f32_f16 v71, v81, v85, v71
	;;#ASMEND
	;;#ASMSTART
	v_dot2_f32_f16 v71, v82, v86, v71
	;;#ASMEND
	;;#ASMSTART
	v_dot2_f32_f16 v71, v83, v87, v71
	;;#ASMEND
	;;#ASMSTART
	v_dot2_f32_f16 v71, v84, v88, v71
	;;#ASMEND
	s_waitcnt lgkmcnt(1)
	;;#ASMSTART
	v_dot2_f32_f16 v72, v81, v89, v72
	;;#ASMEND
	;;#ASMSTART
	v_dot2_f32_f16 v72, v82, v90, v72
	;;#ASMEND
	;;#ASMSTART
	v_dot2_f32_f16 v72, v83, v91, v72
	;;#ASMEND
	;;#ASMSTART
	v_dot2_f32_f16 v72, v84, v92, v72
	;;#ASMEND
	;; [unrolled: 13-line block ×3, first 2 shown]
	;;#ASMSTART
	v_dot2_f32_f16 v74, v93, v89, v74
	;;#ASMEND
	;;#ASMSTART
	v_dot2_f32_f16 v74, v94, v90, v74
	;;#ASMEND
	;; [unrolled: 3-line block ×4, first 2 shown]
	s_barrier
	buffer_gl0_inv
	s_clause 0x1
	global_load_dwordx4 v[81:84], v[27:28], off offset:384
	global_load_dwordx4 v[85:88], v[25:26], off offset:384
	s_waitcnt vmcnt(1)
	ds_write_b128 v38, v[81:84]
	s_waitcnt vmcnt(0)
	ds_write_b128 v39, v[85:88]
	s_waitcnt lgkmcnt(0)
	s_barrier
	buffer_gl0_inv
	ds_read_b128 v[81:84], v40
	ds_read_b128 v[85:88], v31 offset:384
	ds_read_b128 v[89:92], v31 offset:1536
	ds_read_b128 v[93:96], v40 offset:4608
	s_waitcnt lgkmcnt(2)
	;;#ASMSTART
	v_dot2_f32_f16 v71, v81, v85, v71
	;;#ASMEND
	;;#ASMSTART
	v_dot2_f32_f16 v71, v82, v86, v71
	;;#ASMEND
	;;#ASMSTART
	v_dot2_f32_f16 v71, v83, v87, v71
	;;#ASMEND
	;;#ASMSTART
	v_dot2_f32_f16 v71, v84, v88, v71
	;;#ASMEND
	s_waitcnt lgkmcnt(1)
	;;#ASMSTART
	v_dot2_f32_f16 v72, v81, v89, v72
	;;#ASMEND
	;;#ASMSTART
	v_dot2_f32_f16 v72, v82, v90, v72
	;;#ASMEND
	;;#ASMSTART
	v_dot2_f32_f16 v72, v83, v91, v72
	;;#ASMEND
	;;#ASMSTART
	v_dot2_f32_f16 v72, v84, v92, v72
	;;#ASMEND
	s_waitcnt lgkmcnt(0)
	;;#ASMSTART
	v_dot2_f32_f16 v73, v93, v85, v73
	;;#ASMEND
	;;#ASMSTART
	v_dot2_f32_f16 v73, v94, v86, v73
	;;#ASMEND
	;;#ASMSTART
	v_dot2_f32_f16 v73, v95, v87, v73
	;;#ASMEND
	;;#ASMSTART
	v_dot2_f32_f16 v73, v96, v88, v73
	;;#ASMEND
	;;#ASMSTART
	v_dot2_f32_f16 v74, v93, v89, v74
	;;#ASMEND
	;;#ASMSTART
	v_dot2_f32_f16 v74, v94, v90, v74
	;;#ASMEND
	;;#ASMSTART
	v_dot2_f32_f16 v74, v95, v91, v74
	;;#ASMEND
	;;#ASMSTART
	v_dot2_f32_f16 v74, v96, v92, v74
	;;#ASMEND
	ds_read_b128 v[81:84], v40 offset:16
	ds_read_b128 v[85:88], v31 offset:400
	ds_read_b128 v[89:92], v31 offset:1552
	ds_read_b128 v[93:96], v40 offset:4624
	s_waitcnt lgkmcnt(2)
	;;#ASMSTART
	v_dot2_f32_f16 v71, v81, v85, v71
	;;#ASMEND
	;;#ASMSTART
	v_dot2_f32_f16 v71, v82, v86, v71
	;;#ASMEND
	;;#ASMSTART
	v_dot2_f32_f16 v71, v83, v87, v71
	;;#ASMEND
	;;#ASMSTART
	v_dot2_f32_f16 v71, v84, v88, v71
	;;#ASMEND
	s_waitcnt lgkmcnt(1)
	;;#ASMSTART
	v_dot2_f32_f16 v72, v81, v89, v72
	;;#ASMEND
	;;#ASMSTART
	v_dot2_f32_f16 v72, v82, v90, v72
	;;#ASMEND
	;;#ASMSTART
	v_dot2_f32_f16 v72, v83, v91, v72
	;;#ASMEND
	;;#ASMSTART
	v_dot2_f32_f16 v72, v84, v92, v72
	;;#ASMEND
	s_waitcnt lgkmcnt(0)
	;;#ASMSTART
	v_dot2_f32_f16 v73, v93, v85, v73
	;;#ASMEND
	;;#ASMSTART
	v_dot2_f32_f16 v73, v94, v86, v73
	;;#ASMEND
	;;#ASMSTART
	v_dot2_f32_f16 v73, v95, v87, v73
	;;#ASMEND
	;;#ASMSTART
	v_dot2_f32_f16 v73, v96, v88, v73
	;;#ASMEND
	;;#ASMSTART
	v_dot2_f32_f16 v74, v93, v89, v74
	;;#ASMEND
	;;#ASMSTART
	v_dot2_f32_f16 v74, v94, v90, v74
	;;#ASMEND
	;;#ASMSTART
	v_dot2_f32_f16 v74, v95, v91, v74
	;;#ASMEND
	;;#ASMSTART
	v_dot2_f32_f16 v74, v96, v92, v74
	;;#ASMEND
	ds_read_b128 v[81:84], v40 offset:32
	;; [unrolled: 55-line block ×7, first 2 shown]
	ds_read_b128 v[85:88], v31 offset:496
	ds_read_b128 v[89:92], v31 offset:1648
	;; [unrolled: 1-line block ×3, first 2 shown]
	s_waitcnt lgkmcnt(2)
	;;#ASMSTART
	v_dot2_f32_f16 v71, v81, v85, v71
	;;#ASMEND
	;;#ASMSTART
	v_dot2_f32_f16 v71, v82, v86, v71
	;;#ASMEND
	;;#ASMSTART
	v_dot2_f32_f16 v71, v83, v87, v71
	;;#ASMEND
	;;#ASMSTART
	v_dot2_f32_f16 v71, v84, v88, v71
	;;#ASMEND
	s_waitcnt lgkmcnt(1)
	;;#ASMSTART
	v_dot2_f32_f16 v72, v81, v89, v72
	;;#ASMEND
	;;#ASMSTART
	v_dot2_f32_f16 v72, v82, v90, v72
	;;#ASMEND
	;;#ASMSTART
	v_dot2_f32_f16 v72, v83, v91, v72
	;;#ASMEND
	;;#ASMSTART
	v_dot2_f32_f16 v72, v84, v92, v72
	;;#ASMEND
	;; [unrolled: 13-line block ×3, first 2 shown]
	;;#ASMSTART
	v_dot2_f32_f16 v74, v93, v89, v74
	;;#ASMEND
	;;#ASMSTART
	v_dot2_f32_f16 v74, v94, v90, v74
	;;#ASMEND
	;; [unrolled: 3-line block ×4, first 2 shown]
	s_barrier
	buffer_gl0_inv
	s_clause 0x1
	global_load_dwordx4 v[81:84], v[27:28], off offset:512
	global_load_dwordx4 v[85:88], v[25:26], off offset:512
	s_waitcnt vmcnt(1)
	ds_write_b128 v38, v[81:84]
	s_waitcnt vmcnt(0)
	ds_write_b128 v39, v[85:88]
	s_waitcnt lgkmcnt(0)
	s_barrier
	buffer_gl0_inv
	ds_read_b128 v[81:84], v40
	ds_read_b128 v[85:88], v31 offset:512
	ds_read_b128 v[89:92], v31 offset:1664
	ds_read_b128 v[93:96], v40 offset:4608
	s_waitcnt lgkmcnt(2)
	;;#ASMSTART
	v_dot2_f32_f16 v71, v81, v85, v71
	;;#ASMEND
	;;#ASMSTART
	v_dot2_f32_f16 v71, v82, v86, v71
	;;#ASMEND
	;;#ASMSTART
	v_dot2_f32_f16 v71, v83, v87, v71
	;;#ASMEND
	;;#ASMSTART
	v_dot2_f32_f16 v71, v84, v88, v71
	;;#ASMEND
	s_waitcnt lgkmcnt(1)
	;;#ASMSTART
	v_dot2_f32_f16 v72, v81, v89, v72
	;;#ASMEND
	;;#ASMSTART
	v_dot2_f32_f16 v72, v82, v90, v72
	;;#ASMEND
	;;#ASMSTART
	v_dot2_f32_f16 v72, v83, v91, v72
	;;#ASMEND
	;;#ASMSTART
	v_dot2_f32_f16 v72, v84, v92, v72
	;;#ASMEND
	s_waitcnt lgkmcnt(0)
	;;#ASMSTART
	v_dot2_f32_f16 v73, v93, v85, v73
	;;#ASMEND
	;;#ASMSTART
	v_dot2_f32_f16 v73, v94, v86, v73
	;;#ASMEND
	;;#ASMSTART
	v_dot2_f32_f16 v73, v95, v87, v73
	;;#ASMEND
	;;#ASMSTART
	v_dot2_f32_f16 v73, v96, v88, v73
	;;#ASMEND
	;;#ASMSTART
	v_dot2_f32_f16 v74, v93, v89, v74
	;;#ASMEND
	;;#ASMSTART
	v_dot2_f32_f16 v74, v94, v90, v74
	;;#ASMEND
	;;#ASMSTART
	v_dot2_f32_f16 v74, v95, v91, v74
	;;#ASMEND
	;;#ASMSTART
	v_dot2_f32_f16 v74, v96, v92, v74
	;;#ASMEND
	ds_read_b128 v[81:84], v40 offset:16
	ds_read_b128 v[85:88], v31 offset:528
	ds_read_b128 v[89:92], v31 offset:1680
	ds_read_b128 v[93:96], v40 offset:4624
	s_waitcnt lgkmcnt(2)
	;;#ASMSTART
	v_dot2_f32_f16 v71, v81, v85, v71
	;;#ASMEND
	;;#ASMSTART
	v_dot2_f32_f16 v71, v82, v86, v71
	;;#ASMEND
	;;#ASMSTART
	v_dot2_f32_f16 v71, v83, v87, v71
	;;#ASMEND
	;;#ASMSTART
	v_dot2_f32_f16 v71, v84, v88, v71
	;;#ASMEND
	s_waitcnt lgkmcnt(1)
	;;#ASMSTART
	v_dot2_f32_f16 v72, v81, v89, v72
	;;#ASMEND
	;;#ASMSTART
	v_dot2_f32_f16 v72, v82, v90, v72
	;;#ASMEND
	;;#ASMSTART
	v_dot2_f32_f16 v72, v83, v91, v72
	;;#ASMEND
	;;#ASMSTART
	v_dot2_f32_f16 v72, v84, v92, v72
	;;#ASMEND
	s_waitcnt lgkmcnt(0)
	;;#ASMSTART
	v_dot2_f32_f16 v73, v93, v85, v73
	;;#ASMEND
	;;#ASMSTART
	v_dot2_f32_f16 v73, v94, v86, v73
	;;#ASMEND
	;;#ASMSTART
	v_dot2_f32_f16 v73, v95, v87, v73
	;;#ASMEND
	;;#ASMSTART
	v_dot2_f32_f16 v73, v96, v88, v73
	;;#ASMEND
	;;#ASMSTART
	v_dot2_f32_f16 v74, v93, v89, v74
	;;#ASMEND
	;;#ASMSTART
	v_dot2_f32_f16 v74, v94, v90, v74
	;;#ASMEND
	;;#ASMSTART
	v_dot2_f32_f16 v74, v95, v91, v74
	;;#ASMEND
	;;#ASMSTART
	v_dot2_f32_f16 v74, v96, v92, v74
	;;#ASMEND
	ds_read_b128 v[81:84], v40 offset:32
	;; [unrolled: 55-line block ×7, first 2 shown]
	ds_read_b128 v[85:88], v31 offset:624
	ds_read_b128 v[89:92], v31 offset:1776
	;; [unrolled: 1-line block ×3, first 2 shown]
	s_waitcnt lgkmcnt(2)
	;;#ASMSTART
	v_dot2_f32_f16 v71, v81, v85, v71
	;;#ASMEND
	;;#ASMSTART
	v_dot2_f32_f16 v71, v82, v86, v71
	;;#ASMEND
	;;#ASMSTART
	v_dot2_f32_f16 v71, v83, v87, v71
	;;#ASMEND
	;;#ASMSTART
	v_dot2_f32_f16 v71, v84, v88, v71
	;;#ASMEND
	s_waitcnt lgkmcnt(1)
	;;#ASMSTART
	v_dot2_f32_f16 v72, v81, v89, v72
	;;#ASMEND
	;;#ASMSTART
	v_dot2_f32_f16 v72, v82, v90, v72
	;;#ASMEND
	;;#ASMSTART
	v_dot2_f32_f16 v72, v83, v91, v72
	;;#ASMEND
	;;#ASMSTART
	v_dot2_f32_f16 v72, v84, v92, v72
	;;#ASMEND
	;; [unrolled: 13-line block ×3, first 2 shown]
	;;#ASMSTART
	v_dot2_f32_f16 v74, v93, v89, v74
	;;#ASMEND
	;;#ASMSTART
	v_dot2_f32_f16 v74, v94, v90, v74
	;;#ASMEND
	;; [unrolled: 3-line block ×4, first 2 shown]
	s_barrier
	buffer_gl0_inv
	s_clause 0x1
	global_load_dwordx4 v[81:84], v[27:28], off offset:640
	global_load_dwordx4 v[85:88], v[25:26], off offset:640
	s_waitcnt vmcnt(1)
	ds_write_b128 v38, v[81:84]
	s_waitcnt vmcnt(0)
	ds_write_b128 v39, v[85:88]
	s_waitcnt lgkmcnt(0)
	s_barrier
	buffer_gl0_inv
	ds_read_b128 v[81:84], v40
	ds_read_b128 v[85:88], v31 offset:640
	ds_read_b128 v[89:92], v31 offset:1792
	ds_read_b128 v[93:96], v40 offset:4608
	s_waitcnt lgkmcnt(2)
	;;#ASMSTART
	v_dot2_f32_f16 v71, v81, v85, v71
	;;#ASMEND
	;;#ASMSTART
	v_dot2_f32_f16 v71, v82, v86, v71
	;;#ASMEND
	;;#ASMSTART
	v_dot2_f32_f16 v71, v83, v87, v71
	;;#ASMEND
	;;#ASMSTART
	v_dot2_f32_f16 v71, v84, v88, v71
	;;#ASMEND
	s_waitcnt lgkmcnt(1)
	;;#ASMSTART
	v_dot2_f32_f16 v72, v81, v89, v72
	;;#ASMEND
	;;#ASMSTART
	v_dot2_f32_f16 v72, v82, v90, v72
	;;#ASMEND
	;;#ASMSTART
	v_dot2_f32_f16 v72, v83, v91, v72
	;;#ASMEND
	;;#ASMSTART
	v_dot2_f32_f16 v72, v84, v92, v72
	;;#ASMEND
	s_waitcnt lgkmcnt(0)
	;;#ASMSTART
	v_dot2_f32_f16 v73, v93, v85, v73
	;;#ASMEND
	;;#ASMSTART
	v_dot2_f32_f16 v73, v94, v86, v73
	;;#ASMEND
	;;#ASMSTART
	v_dot2_f32_f16 v73, v95, v87, v73
	;;#ASMEND
	;;#ASMSTART
	v_dot2_f32_f16 v73, v96, v88, v73
	;;#ASMEND
	;;#ASMSTART
	v_dot2_f32_f16 v74, v93, v89, v74
	;;#ASMEND
	;;#ASMSTART
	v_dot2_f32_f16 v74, v94, v90, v74
	;;#ASMEND
	;;#ASMSTART
	v_dot2_f32_f16 v74, v95, v91, v74
	;;#ASMEND
	;;#ASMSTART
	v_dot2_f32_f16 v74, v96, v92, v74
	;;#ASMEND
	ds_read_b128 v[81:84], v40 offset:16
	ds_read_b128 v[85:88], v31 offset:656
	ds_read_b128 v[89:92], v31 offset:1808
	ds_read_b128 v[93:96], v40 offset:4624
	s_waitcnt lgkmcnt(2)
	;;#ASMSTART
	v_dot2_f32_f16 v71, v81, v85, v71
	;;#ASMEND
	;;#ASMSTART
	v_dot2_f32_f16 v71, v82, v86, v71
	;;#ASMEND
	;;#ASMSTART
	v_dot2_f32_f16 v71, v83, v87, v71
	;;#ASMEND
	;;#ASMSTART
	v_dot2_f32_f16 v71, v84, v88, v71
	;;#ASMEND
	s_waitcnt lgkmcnt(1)
	;;#ASMSTART
	v_dot2_f32_f16 v72, v81, v89, v72
	;;#ASMEND
	;;#ASMSTART
	v_dot2_f32_f16 v72, v82, v90, v72
	;;#ASMEND
	;;#ASMSTART
	v_dot2_f32_f16 v72, v83, v91, v72
	;;#ASMEND
	;;#ASMSTART
	v_dot2_f32_f16 v72, v84, v92, v72
	;;#ASMEND
	s_waitcnt lgkmcnt(0)
	;;#ASMSTART
	v_dot2_f32_f16 v73, v93, v85, v73
	;;#ASMEND
	;;#ASMSTART
	v_dot2_f32_f16 v73, v94, v86, v73
	;;#ASMEND
	;;#ASMSTART
	v_dot2_f32_f16 v73, v95, v87, v73
	;;#ASMEND
	;;#ASMSTART
	v_dot2_f32_f16 v73, v96, v88, v73
	;;#ASMEND
	;;#ASMSTART
	v_dot2_f32_f16 v74, v93, v89, v74
	;;#ASMEND
	;;#ASMSTART
	v_dot2_f32_f16 v74, v94, v90, v74
	;;#ASMEND
	;;#ASMSTART
	v_dot2_f32_f16 v74, v95, v91, v74
	;;#ASMEND
	;;#ASMSTART
	v_dot2_f32_f16 v74, v96, v92, v74
	;;#ASMEND
	ds_read_b128 v[81:84], v40 offset:32
	;; [unrolled: 55-line block ×7, first 2 shown]
	ds_read_b128 v[85:88], v31 offset:752
	ds_read_b128 v[89:92], v31 offset:1904
	;; [unrolled: 1-line block ×3, first 2 shown]
	s_waitcnt lgkmcnt(2)
	;;#ASMSTART
	v_dot2_f32_f16 v71, v81, v85, v71
	;;#ASMEND
	;;#ASMSTART
	v_dot2_f32_f16 v71, v82, v86, v71
	;;#ASMEND
	;;#ASMSTART
	v_dot2_f32_f16 v71, v83, v87, v71
	;;#ASMEND
	;;#ASMSTART
	v_dot2_f32_f16 v71, v84, v88, v71
	;;#ASMEND
	s_waitcnt lgkmcnt(1)
	;;#ASMSTART
	v_dot2_f32_f16 v72, v81, v89, v72
	;;#ASMEND
	;;#ASMSTART
	v_dot2_f32_f16 v72, v82, v90, v72
	;;#ASMEND
	;;#ASMSTART
	v_dot2_f32_f16 v72, v83, v91, v72
	;;#ASMEND
	;;#ASMSTART
	v_dot2_f32_f16 v72, v84, v92, v72
	;;#ASMEND
	;; [unrolled: 13-line block ×3, first 2 shown]
	;;#ASMSTART
	v_dot2_f32_f16 v74, v93, v89, v74
	;;#ASMEND
	;;#ASMSTART
	v_dot2_f32_f16 v74, v94, v90, v74
	;;#ASMEND
	;; [unrolled: 3-line block ×4, first 2 shown]
	s_barrier
	buffer_gl0_inv
	s_clause 0x1
	global_load_dwordx4 v[81:84], v[27:28], off offset:768
	global_load_dwordx4 v[85:88], v[25:26], off offset:768
	s_waitcnt vmcnt(1)
	ds_write_b128 v38, v[81:84]
	s_waitcnt vmcnt(0)
	ds_write_b128 v39, v[85:88]
	s_waitcnt lgkmcnt(0)
	s_barrier
	buffer_gl0_inv
	ds_read_b128 v[81:84], v40
	ds_read_b128 v[85:88], v31 offset:768
	ds_read_b128 v[89:92], v31 offset:1920
	ds_read_b128 v[93:96], v40 offset:4608
	s_waitcnt lgkmcnt(2)
	;;#ASMSTART
	v_dot2_f32_f16 v71, v81, v85, v71
	;;#ASMEND
	;;#ASMSTART
	v_dot2_f32_f16 v71, v82, v86, v71
	;;#ASMEND
	;;#ASMSTART
	v_dot2_f32_f16 v71, v83, v87, v71
	;;#ASMEND
	;;#ASMSTART
	v_dot2_f32_f16 v71, v84, v88, v71
	;;#ASMEND
	s_waitcnt lgkmcnt(1)
	;;#ASMSTART
	v_dot2_f32_f16 v72, v81, v89, v72
	;;#ASMEND
	;;#ASMSTART
	v_dot2_f32_f16 v72, v82, v90, v72
	;;#ASMEND
	;;#ASMSTART
	v_dot2_f32_f16 v72, v83, v91, v72
	;;#ASMEND
	;;#ASMSTART
	v_dot2_f32_f16 v72, v84, v92, v72
	;;#ASMEND
	s_waitcnt lgkmcnt(0)
	;;#ASMSTART
	v_dot2_f32_f16 v73, v93, v85, v73
	;;#ASMEND
	;;#ASMSTART
	v_dot2_f32_f16 v73, v94, v86, v73
	;;#ASMEND
	;;#ASMSTART
	v_dot2_f32_f16 v73, v95, v87, v73
	;;#ASMEND
	;;#ASMSTART
	v_dot2_f32_f16 v73, v96, v88, v73
	;;#ASMEND
	;;#ASMSTART
	v_dot2_f32_f16 v74, v93, v89, v74
	;;#ASMEND
	;;#ASMSTART
	v_dot2_f32_f16 v74, v94, v90, v74
	;;#ASMEND
	;;#ASMSTART
	v_dot2_f32_f16 v74, v95, v91, v74
	;;#ASMEND
	;;#ASMSTART
	v_dot2_f32_f16 v74, v96, v92, v74
	;;#ASMEND
	ds_read_b128 v[81:84], v40 offset:16
	ds_read_b128 v[85:88], v31 offset:784
	ds_read_b128 v[89:92], v31 offset:1936
	ds_read_b128 v[93:96], v40 offset:4624
	s_waitcnt lgkmcnt(2)
	;;#ASMSTART
	v_dot2_f32_f16 v71, v81, v85, v71
	;;#ASMEND
	;;#ASMSTART
	v_dot2_f32_f16 v71, v82, v86, v71
	;;#ASMEND
	;;#ASMSTART
	v_dot2_f32_f16 v71, v83, v87, v71
	;;#ASMEND
	;;#ASMSTART
	v_dot2_f32_f16 v71, v84, v88, v71
	;;#ASMEND
	s_waitcnt lgkmcnt(1)
	;;#ASMSTART
	v_dot2_f32_f16 v72, v81, v89, v72
	;;#ASMEND
	;;#ASMSTART
	v_dot2_f32_f16 v72, v82, v90, v72
	;;#ASMEND
	;;#ASMSTART
	v_dot2_f32_f16 v72, v83, v91, v72
	;;#ASMEND
	;;#ASMSTART
	v_dot2_f32_f16 v72, v84, v92, v72
	;;#ASMEND
	s_waitcnt lgkmcnt(0)
	;;#ASMSTART
	v_dot2_f32_f16 v73, v93, v85, v73
	;;#ASMEND
	;;#ASMSTART
	v_dot2_f32_f16 v73, v94, v86, v73
	;;#ASMEND
	;;#ASMSTART
	v_dot2_f32_f16 v73, v95, v87, v73
	;;#ASMEND
	;;#ASMSTART
	v_dot2_f32_f16 v73, v96, v88, v73
	;;#ASMEND
	;;#ASMSTART
	v_dot2_f32_f16 v74, v93, v89, v74
	;;#ASMEND
	;;#ASMSTART
	v_dot2_f32_f16 v74, v94, v90, v74
	;;#ASMEND
	;;#ASMSTART
	v_dot2_f32_f16 v74, v95, v91, v74
	;;#ASMEND
	;;#ASMSTART
	v_dot2_f32_f16 v74, v96, v92, v74
	;;#ASMEND
	ds_read_b128 v[81:84], v40 offset:32
	;; [unrolled: 55-line block ×7, first 2 shown]
	ds_read_b128 v[85:88], v31 offset:880
	ds_read_b128 v[89:92], v31 offset:2032
	;; [unrolled: 1-line block ×3, first 2 shown]
	s_waitcnt lgkmcnt(2)
	;;#ASMSTART
	v_dot2_f32_f16 v71, v81, v85, v71
	;;#ASMEND
	;;#ASMSTART
	v_dot2_f32_f16 v71, v82, v86, v71
	;;#ASMEND
	;;#ASMSTART
	v_dot2_f32_f16 v71, v83, v87, v71
	;;#ASMEND
	;;#ASMSTART
	v_dot2_f32_f16 v71, v84, v88, v71
	;;#ASMEND
	s_waitcnt lgkmcnt(1)
	;;#ASMSTART
	v_dot2_f32_f16 v72, v81, v89, v72
	;;#ASMEND
	;;#ASMSTART
	v_dot2_f32_f16 v72, v82, v90, v72
	;;#ASMEND
	;;#ASMSTART
	v_dot2_f32_f16 v72, v83, v91, v72
	;;#ASMEND
	;;#ASMSTART
	v_dot2_f32_f16 v72, v84, v92, v72
	;;#ASMEND
	;; [unrolled: 13-line block ×3, first 2 shown]
	;;#ASMSTART
	v_dot2_f32_f16 v74, v93, v89, v74
	;;#ASMEND
	;;#ASMSTART
	v_dot2_f32_f16 v74, v94, v90, v74
	;;#ASMEND
	;; [unrolled: 3-line block ×4, first 2 shown]
	s_barrier
	buffer_gl0_inv
	s_clause 0x1
	global_load_dwordx4 v[81:84], v[27:28], off offset:896
	global_load_dwordx4 v[85:88], v[25:26], off offset:896
	s_waitcnt vmcnt(1)
	ds_write_b128 v38, v[81:84]
	s_waitcnt vmcnt(0)
	ds_write_b128 v39, v[85:88]
	s_waitcnt lgkmcnt(0)
	s_barrier
	buffer_gl0_inv
	ds_read_b128 v[81:84], v40
	ds_read_b128 v[85:88], v31 offset:896
	ds_read_b128 v[89:92], v31 offset:2048
	ds_read_b128 v[93:96], v40 offset:4608
	s_waitcnt lgkmcnt(2)
	;;#ASMSTART
	v_dot2_f32_f16 v71, v81, v85, v71
	;;#ASMEND
	;;#ASMSTART
	v_dot2_f32_f16 v71, v82, v86, v71
	;;#ASMEND
	;;#ASMSTART
	v_dot2_f32_f16 v71, v83, v87, v71
	;;#ASMEND
	;;#ASMSTART
	v_dot2_f32_f16 v71, v84, v88, v71
	;;#ASMEND
	s_waitcnt lgkmcnt(1)
	;;#ASMSTART
	v_dot2_f32_f16 v72, v81, v89, v72
	;;#ASMEND
	;;#ASMSTART
	v_dot2_f32_f16 v72, v82, v90, v72
	;;#ASMEND
	;;#ASMSTART
	v_dot2_f32_f16 v72, v83, v91, v72
	;;#ASMEND
	;;#ASMSTART
	v_dot2_f32_f16 v72, v84, v92, v72
	;;#ASMEND
	s_waitcnt lgkmcnt(0)
	;;#ASMSTART
	v_dot2_f32_f16 v73, v93, v85, v73
	;;#ASMEND
	;;#ASMSTART
	v_dot2_f32_f16 v73, v94, v86, v73
	;;#ASMEND
	;;#ASMSTART
	v_dot2_f32_f16 v73, v95, v87, v73
	;;#ASMEND
	;;#ASMSTART
	v_dot2_f32_f16 v73, v96, v88, v73
	;;#ASMEND
	;;#ASMSTART
	v_dot2_f32_f16 v74, v93, v89, v74
	;;#ASMEND
	;;#ASMSTART
	v_dot2_f32_f16 v74, v94, v90, v74
	;;#ASMEND
	;;#ASMSTART
	v_dot2_f32_f16 v74, v95, v91, v74
	;;#ASMEND
	;;#ASMSTART
	v_dot2_f32_f16 v74, v96, v92, v74
	;;#ASMEND
	ds_read_b128 v[81:84], v40 offset:16
	ds_read_b128 v[85:88], v31 offset:912
	ds_read_b128 v[89:92], v31 offset:2064
	ds_read_b128 v[93:96], v40 offset:4624
	s_waitcnt lgkmcnt(2)
	;;#ASMSTART
	v_dot2_f32_f16 v71, v81, v85, v71
	;;#ASMEND
	;;#ASMSTART
	v_dot2_f32_f16 v71, v82, v86, v71
	;;#ASMEND
	;;#ASMSTART
	v_dot2_f32_f16 v71, v83, v87, v71
	;;#ASMEND
	;;#ASMSTART
	v_dot2_f32_f16 v71, v84, v88, v71
	;;#ASMEND
	s_waitcnt lgkmcnt(1)
	;;#ASMSTART
	v_dot2_f32_f16 v72, v81, v89, v72
	;;#ASMEND
	;;#ASMSTART
	v_dot2_f32_f16 v72, v82, v90, v72
	;;#ASMEND
	;;#ASMSTART
	v_dot2_f32_f16 v72, v83, v91, v72
	;;#ASMEND
	;;#ASMSTART
	v_dot2_f32_f16 v72, v84, v92, v72
	;;#ASMEND
	s_waitcnt lgkmcnt(0)
	;;#ASMSTART
	v_dot2_f32_f16 v73, v93, v85, v73
	;;#ASMEND
	;;#ASMSTART
	v_dot2_f32_f16 v73, v94, v86, v73
	;;#ASMEND
	;;#ASMSTART
	v_dot2_f32_f16 v73, v95, v87, v73
	;;#ASMEND
	;;#ASMSTART
	v_dot2_f32_f16 v73, v96, v88, v73
	;;#ASMEND
	;;#ASMSTART
	v_dot2_f32_f16 v74, v93, v89, v74
	;;#ASMEND
	;;#ASMSTART
	v_dot2_f32_f16 v74, v94, v90, v74
	;;#ASMEND
	;;#ASMSTART
	v_dot2_f32_f16 v74, v95, v91, v74
	;;#ASMEND
	;;#ASMSTART
	v_dot2_f32_f16 v74, v96, v92, v74
	;;#ASMEND
	ds_read_b128 v[81:84], v40 offset:32
	ds_read_b128 v[85:88], v31 offset:928
	ds_read_b128 v[89:92], v31 offset:2080
	ds_read_b128 v[93:96], v40 offset:4640
	s_waitcnt lgkmcnt(2)
	;;#ASMSTART
	v_dot2_f32_f16 v71, v81, v85, v71
	;;#ASMEND
	;;#ASMSTART
	v_dot2_f32_f16 v71, v82, v86, v71
	;;#ASMEND
	;;#ASMSTART
	v_dot2_f32_f16 v71, v83, v87, v71
	;;#ASMEND
	;;#ASMSTART
	v_dot2_f32_f16 v71, v84, v88, v71
	;;#ASMEND
	s_waitcnt lgkmcnt(1)
	;;#ASMSTART
	v_dot2_f32_f16 v72, v81, v89, v72
	;;#ASMEND
	;;#ASMSTART
	v_dot2_f32_f16 v72, v82, v90, v72
	;;#ASMEND
	;;#ASMSTART
	v_dot2_f32_f16 v72, v83, v91, v72
	;;#ASMEND
	;;#ASMSTART
	v_dot2_f32_f16 v72, v84, v92, v72
	;;#ASMEND
	s_waitcnt lgkmcnt(0)
	;;#ASMSTART
	v_dot2_f32_f16 v73, v93, v85, v73
	;;#ASMEND
	;;#ASMSTART
	v_dot2_f32_f16 v73, v94, v86, v73
	;;#ASMEND
	;;#ASMSTART
	v_dot2_f32_f16 v73, v95, v87, v73
	;;#ASMEND
	;;#ASMSTART
	v_dot2_f32_f16 v73, v96, v88, v73
	;;#ASMEND
	;;#ASMSTART
	v_dot2_f32_f16 v74, v93, v89, v74
	;;#ASMEND
	;;#ASMSTART
	v_dot2_f32_f16 v74, v94, v90, v74
	;;#ASMEND
	;;#ASMSTART
	v_dot2_f32_f16 v74, v95, v91, v74
	;;#ASMEND
	;;#ASMSTART
	v_dot2_f32_f16 v74, v96, v92, v74
	;;#ASMEND
	ds_read_b128 v[81:84], v40 offset:48
	ds_read_b128 v[85:88], v31 offset:944
	ds_read_b128 v[89:92], v31 offset:2096
	ds_read_b128 v[93:96], v40 offset:4656
	s_waitcnt lgkmcnt(2)
	;;#ASMSTART
	v_dot2_f32_f16 v71, v81, v85, v71
	;;#ASMEND
	;;#ASMSTART
	v_dot2_f32_f16 v71, v82, v86, v71
	;;#ASMEND
	;;#ASMSTART
	v_dot2_f32_f16 v71, v83, v87, v71
	;;#ASMEND
	;;#ASMSTART
	v_dot2_f32_f16 v71, v84, v88, v71
	;;#ASMEND
	s_waitcnt lgkmcnt(1)
	;;#ASMSTART
	v_dot2_f32_f16 v72, v81, v89, v72
	;;#ASMEND
	;;#ASMSTART
	v_dot2_f32_f16 v72, v82, v90, v72
	;;#ASMEND
	;;#ASMSTART
	v_dot2_f32_f16 v72, v83, v91, v72
	;;#ASMEND
	;;#ASMSTART
	v_dot2_f32_f16 v72, v84, v92, v72
	;;#ASMEND
	s_waitcnt lgkmcnt(0)
	;;#ASMSTART
	v_dot2_f32_f16 v73, v93, v85, v73
	;;#ASMEND
	;;#ASMSTART
	v_dot2_f32_f16 v73, v94, v86, v73
	;;#ASMEND
	;;#ASMSTART
	v_dot2_f32_f16 v73, v95, v87, v73
	;;#ASMEND
	;;#ASMSTART
	v_dot2_f32_f16 v73, v96, v88, v73
	;;#ASMEND
	;;#ASMSTART
	v_dot2_f32_f16 v74, v93, v89, v74
	;;#ASMEND
	;;#ASMSTART
	v_dot2_f32_f16 v74, v94, v90, v74
	;;#ASMEND
	;;#ASMSTART
	v_dot2_f32_f16 v74, v95, v91, v74
	;;#ASMEND
	;;#ASMSTART
	v_dot2_f32_f16 v74, v96, v92, v74
	;;#ASMEND
	ds_read_b128 v[81:84], v40 offset:64
	ds_read_b128 v[85:88], v31 offset:960
	ds_read_b128 v[89:92], v31 offset:2112
	ds_read_b128 v[93:96], v40 offset:4672
	s_waitcnt lgkmcnt(2)
	;;#ASMSTART
	v_dot2_f32_f16 v71, v81, v85, v71
	;;#ASMEND
	;;#ASMSTART
	v_dot2_f32_f16 v71, v82, v86, v71
	;;#ASMEND
	;;#ASMSTART
	v_dot2_f32_f16 v71, v83, v87, v71
	;;#ASMEND
	;;#ASMSTART
	v_dot2_f32_f16 v71, v84, v88, v71
	;;#ASMEND
	s_waitcnt lgkmcnt(1)
	;;#ASMSTART
	v_dot2_f32_f16 v72, v81, v89, v72
	;;#ASMEND
	;;#ASMSTART
	v_dot2_f32_f16 v72, v82, v90, v72
	;;#ASMEND
	;;#ASMSTART
	v_dot2_f32_f16 v72, v83, v91, v72
	;;#ASMEND
	;;#ASMSTART
	v_dot2_f32_f16 v72, v84, v92, v72
	;;#ASMEND
	s_waitcnt lgkmcnt(0)
	;;#ASMSTART
	v_dot2_f32_f16 v73, v93, v85, v73
	;;#ASMEND
	;;#ASMSTART
	v_dot2_f32_f16 v73, v94, v86, v73
	;;#ASMEND
	;;#ASMSTART
	v_dot2_f32_f16 v73, v95, v87, v73
	;;#ASMEND
	;;#ASMSTART
	v_dot2_f32_f16 v73, v96, v88, v73
	;;#ASMEND
	;;#ASMSTART
	v_dot2_f32_f16 v74, v93, v89, v74
	;;#ASMEND
	;;#ASMSTART
	v_dot2_f32_f16 v74, v94, v90, v74
	;;#ASMEND
	;;#ASMSTART
	v_dot2_f32_f16 v74, v95, v91, v74
	;;#ASMEND
	;;#ASMSTART
	v_dot2_f32_f16 v74, v96, v92, v74
	;;#ASMEND
	ds_read_b128 v[81:84], v40 offset:80
	ds_read_b128 v[85:88], v31 offset:976
	ds_read_b128 v[89:92], v31 offset:2128
	ds_read_b128 v[93:96], v40 offset:4688
	s_waitcnt lgkmcnt(2)
	;;#ASMSTART
	v_dot2_f32_f16 v71, v81, v85, v71
	;;#ASMEND
	;;#ASMSTART
	v_dot2_f32_f16 v71, v82, v86, v71
	;;#ASMEND
	;;#ASMSTART
	v_dot2_f32_f16 v71, v83, v87, v71
	;;#ASMEND
	;;#ASMSTART
	v_dot2_f32_f16 v71, v84, v88, v71
	;;#ASMEND
	s_waitcnt lgkmcnt(1)
	;;#ASMSTART
	v_dot2_f32_f16 v72, v81, v89, v72
	;;#ASMEND
	;;#ASMSTART
	v_dot2_f32_f16 v72, v82, v90, v72
	;;#ASMEND
	;;#ASMSTART
	v_dot2_f32_f16 v72, v83, v91, v72
	;;#ASMEND
	;;#ASMSTART
	v_dot2_f32_f16 v72, v84, v92, v72
	;;#ASMEND
	s_waitcnt lgkmcnt(0)
	;;#ASMSTART
	v_dot2_f32_f16 v73, v93, v85, v73
	;;#ASMEND
	;;#ASMSTART
	v_dot2_f32_f16 v73, v94, v86, v73
	;;#ASMEND
	;;#ASMSTART
	v_dot2_f32_f16 v73, v95, v87, v73
	;;#ASMEND
	;;#ASMSTART
	v_dot2_f32_f16 v73, v96, v88, v73
	;;#ASMEND
	;;#ASMSTART
	v_dot2_f32_f16 v74, v93, v89, v74
	;;#ASMEND
	;;#ASMSTART
	v_dot2_f32_f16 v74, v94, v90, v74
	;;#ASMEND
	;;#ASMSTART
	v_dot2_f32_f16 v74, v95, v91, v74
	;;#ASMEND
	;;#ASMSTART
	v_dot2_f32_f16 v74, v96, v92, v74
	;;#ASMEND
	ds_read_b128 v[81:84], v40 offset:96
	ds_read_b128 v[85:88], v31 offset:992
	ds_read_b128 v[89:92], v31 offset:2144
	ds_read_b128 v[93:96], v40 offset:4704
	s_waitcnt lgkmcnt(2)
	;;#ASMSTART
	v_dot2_f32_f16 v71, v81, v85, v71
	;;#ASMEND
	;;#ASMSTART
	v_dot2_f32_f16 v71, v82, v86, v71
	;;#ASMEND
	;;#ASMSTART
	v_dot2_f32_f16 v71, v83, v87, v71
	;;#ASMEND
	;;#ASMSTART
	v_dot2_f32_f16 v71, v84, v88, v71
	;;#ASMEND
	s_waitcnt lgkmcnt(1)
	;;#ASMSTART
	v_dot2_f32_f16 v72, v81, v89, v72
	;;#ASMEND
	;;#ASMSTART
	v_dot2_f32_f16 v72, v82, v90, v72
	;;#ASMEND
	;;#ASMSTART
	v_dot2_f32_f16 v72, v83, v91, v72
	;;#ASMEND
	;;#ASMSTART
	v_dot2_f32_f16 v72, v84, v92, v72
	;;#ASMEND
	s_waitcnt lgkmcnt(0)
	;;#ASMSTART
	v_dot2_f32_f16 v73, v93, v85, v73
	;;#ASMEND
	;;#ASMSTART
	v_dot2_f32_f16 v73, v94, v86, v73
	;;#ASMEND
	;;#ASMSTART
	v_dot2_f32_f16 v73, v95, v87, v73
	;;#ASMEND
	;;#ASMSTART
	v_dot2_f32_f16 v73, v96, v88, v73
	;;#ASMEND
	;;#ASMSTART
	v_dot2_f32_f16 v74, v93, v89, v74
	;;#ASMEND
	;;#ASMSTART
	v_dot2_f32_f16 v74, v94, v90, v74
	;;#ASMEND
	;;#ASMSTART
	v_dot2_f32_f16 v74, v95, v91, v74
	;;#ASMEND
	;;#ASMSTART
	v_dot2_f32_f16 v74, v96, v92, v74
	;;#ASMEND
	ds_read_b128 v[81:84], v40 offset:112
	ds_read_b128 v[85:88], v31 offset:1008
	ds_read_b128 v[89:92], v31 offset:2160
	;; [unrolled: 1-line block ×3, first 2 shown]
	s_waitcnt lgkmcnt(2)
	;;#ASMSTART
	v_dot2_f32_f16 v71, v81, v85, v71
	;;#ASMEND
	;;#ASMSTART
	v_dot2_f32_f16 v71, v82, v86, v71
	;;#ASMEND
	;;#ASMSTART
	v_dot2_f32_f16 v71, v83, v87, v71
	;;#ASMEND
	;;#ASMSTART
	v_dot2_f32_f16 v71, v84, v88, v71
	;;#ASMEND
	s_waitcnt lgkmcnt(1)
	;;#ASMSTART
	v_dot2_f32_f16 v72, v81, v89, v72
	;;#ASMEND
	;;#ASMSTART
	v_dot2_f32_f16 v72, v82, v90, v72
	;;#ASMEND
	;;#ASMSTART
	v_dot2_f32_f16 v72, v83, v91, v72
	;;#ASMEND
	;;#ASMSTART
	v_dot2_f32_f16 v72, v84, v92, v72
	;;#ASMEND
	;; [unrolled: 13-line block ×3, first 2 shown]
	;;#ASMSTART
	v_dot2_f32_f16 v74, v93, v89, v74
	;;#ASMEND
	;;#ASMSTART
	v_dot2_f32_f16 v74, v94, v90, v74
	;;#ASMEND
	;; [unrolled: 3-line block ×4, first 2 shown]
	s_barrier
	buffer_gl0_inv
	s_clause 0x1
	global_load_dwordx4 v[81:84], v[27:28], off offset:1024
	global_load_dwordx4 v[25:28], v[25:26], off offset:1024
	s_waitcnt vmcnt(1)
	ds_write_b128 v38, v[81:84]
	s_waitcnt vmcnt(0)
	ds_write_b128 v39, v[25:28]
	s_waitcnt lgkmcnt(0)
	s_barrier
	buffer_gl0_inv
	ds_read_b128 v[25:28], v40
	ds_read_b128 v[81:84], v31 offset:1024
	ds_read_b128 v[85:88], v31 offset:2176
	ds_read_b128 v[89:92], v40 offset:4608
	s_waitcnt lgkmcnt(2)
	;;#ASMSTART
	v_dot2_f32_f16 v71, v25, v81, v71
	;;#ASMEND
	;;#ASMSTART
	v_dot2_f32_f16 v71, v26, v82, v71
	;;#ASMEND
	;;#ASMSTART
	v_dot2_f32_f16 v71, v27, v83, v71
	;;#ASMEND
	;;#ASMSTART
	v_dot2_f32_f16 v71, v28, v84, v71
	;;#ASMEND
	s_waitcnt lgkmcnt(1)
	;;#ASMSTART
	v_dot2_f32_f16 v72, v25, v85, v72
	;;#ASMEND
	;;#ASMSTART
	v_dot2_f32_f16 v72, v26, v86, v72
	;;#ASMEND
	;;#ASMSTART
	v_dot2_f32_f16 v72, v27, v87, v72
	;;#ASMEND
	;;#ASMSTART
	v_dot2_f32_f16 v72, v28, v88, v72
	;;#ASMEND
	s_waitcnt lgkmcnt(0)
	;;#ASMSTART
	v_dot2_f32_f16 v73, v89, v81, v73
	;;#ASMEND
	;;#ASMSTART
	v_dot2_f32_f16 v73, v90, v82, v73
	;;#ASMEND
	;;#ASMSTART
	v_dot2_f32_f16 v73, v91, v83, v73
	;;#ASMEND
	;;#ASMSTART
	v_dot2_f32_f16 v73, v92, v84, v73
	;;#ASMEND
	;;#ASMSTART
	v_dot2_f32_f16 v74, v89, v85, v74
	;;#ASMEND
	;;#ASMSTART
	v_dot2_f32_f16 v74, v90, v86, v74
	;;#ASMEND
	;;#ASMSTART
	v_dot2_f32_f16 v74, v91, v87, v74
	;;#ASMEND
	;;#ASMSTART
	v_dot2_f32_f16 v74, v92, v88, v74
	;;#ASMEND
	ds_read_b128 v[25:28], v40 offset:16
	ds_read_b128 v[81:84], v31 offset:1040
	ds_read_b128 v[85:88], v31 offset:2192
	ds_read_b128 v[89:92], v40 offset:4624
	s_waitcnt lgkmcnt(2)
	;;#ASMSTART
	v_dot2_f32_f16 v71, v25, v81, v71
	;;#ASMEND
	;;#ASMSTART
	v_dot2_f32_f16 v71, v26, v82, v71
	;;#ASMEND
	;;#ASMSTART
	v_dot2_f32_f16 v71, v27, v83, v71
	;;#ASMEND
	;;#ASMSTART
	v_dot2_f32_f16 v71, v28, v84, v71
	;;#ASMEND
	s_waitcnt lgkmcnt(1)
	;;#ASMSTART
	v_dot2_f32_f16 v72, v25, v85, v72
	;;#ASMEND
	;;#ASMSTART
	v_dot2_f32_f16 v72, v26, v86, v72
	;;#ASMEND
	;;#ASMSTART
	v_dot2_f32_f16 v72, v27, v87, v72
	;;#ASMEND
	;;#ASMSTART
	v_dot2_f32_f16 v72, v28, v88, v72
	;;#ASMEND
	s_waitcnt lgkmcnt(0)
	;;#ASMSTART
	v_dot2_f32_f16 v73, v89, v81, v73
	;;#ASMEND
	;;#ASMSTART
	v_dot2_f32_f16 v73, v90, v82, v73
	;;#ASMEND
	;;#ASMSTART
	v_dot2_f32_f16 v73, v91, v83, v73
	;;#ASMEND
	;;#ASMSTART
	v_dot2_f32_f16 v73, v92, v84, v73
	;;#ASMEND
	;;#ASMSTART
	v_dot2_f32_f16 v74, v89, v85, v74
	;;#ASMEND
	;;#ASMSTART
	v_dot2_f32_f16 v74, v90, v86, v74
	;;#ASMEND
	;;#ASMSTART
	v_dot2_f32_f16 v74, v91, v87, v74
	;;#ASMEND
	;;#ASMSTART
	v_dot2_f32_f16 v74, v92, v88, v74
	;;#ASMEND
	ds_read_b128 v[25:28], v40 offset:32
	;; [unrolled: 55-line block ×7, first 2 shown]
	ds_read_b128 v[81:84], v31 offset:1136
	ds_read_b128 v[85:88], v31 offset:2288
	;; [unrolled: 1-line block ×3, first 2 shown]
	s_waitcnt lgkmcnt(2)
	;;#ASMSTART
	v_dot2_f32_f16 v71, v25, v81, v71
	;;#ASMEND
	;;#ASMSTART
	v_dot2_f32_f16 v71, v26, v82, v71
	;;#ASMEND
	;;#ASMSTART
	v_dot2_f32_f16 v71, v27, v83, v71
	;;#ASMEND
	;;#ASMSTART
	v_dot2_f32_f16 v71, v28, v84, v71
	;;#ASMEND
	s_waitcnt lgkmcnt(1)
	;;#ASMSTART
	v_dot2_f32_f16 v72, v25, v85, v72
	;;#ASMEND
	;;#ASMSTART
	v_dot2_f32_f16 v72, v26, v86, v72
	;;#ASMEND
	;;#ASMSTART
	v_dot2_f32_f16 v72, v27, v87, v72
	;;#ASMEND
	;;#ASMSTART
	v_dot2_f32_f16 v72, v28, v88, v72
	;;#ASMEND
	;; [unrolled: 13-line block ×3, first 2 shown]
	;;#ASMSTART
	v_dot2_f32_f16 v74, v89, v85, v74
	;;#ASMEND
	;;#ASMSTART
	v_dot2_f32_f16 v74, v90, v86, v74
	;;#ASMEND
	;; [unrolled: 3-line block ×4, first 2 shown]
	s_clause 0x1
	global_load_ushort v25, v[23:24], off
	global_load_ushort v23, v[23:24], off offset:64
	s_waitcnt vmcnt(0)
	s_barrier
	buffer_gl0_inv
	s_clause 0x1
	global_load_dwordx4 v[81:84], v[13:14], off
	global_load_dwordx4 v[85:88], v[13:14], off offset:512
	v_cvt_f32_f16_e32 v13, v25
	v_cvt_f32_f16_e32 v14, v23
	v_add_f32_e32 v23, v71, v13
	v_add_f32_e32 v24, v73, v14
	;; [unrolled: 1-line block ×8, first 2 shown]
	v_max3_f32 v13, v70, v13, v14
	v_max3_f32 v14, v69, v27, v28
	ds_bpermute_b32 v27, v80, v13
	ds_bpermute_b32 v28, v80, v14
	s_waitcnt lgkmcnt(1)
	v_max_f32_e32 v27, v27, v27
	s_waitcnt lgkmcnt(0)
	v_max_f32_e32 v28, v28, v28
	v_max_f32_e32 v13, v13, v27
	v_max_f32_e32 v14, v14, v28
	ds_bpermute_b32 v27, v79, v13
	ds_bpermute_b32 v28, v79, v14
	s_waitcnt lgkmcnt(1)
	v_max_f32_e32 v27, v27, v27
	s_waitcnt lgkmcnt(0)
	v_max_f32_e32 v28, v28, v28
	v_max_f32_e32 v13, v13, v27
	v_max_f32_e32 v14, v14, v28
	;; [unrolled: 8-line block ×5, first 2 shown]
	v_sub_f32_e32 v27, v70, v13
	v_sub_f32_e32 v23, v23, v13
	;; [unrolled: 1-line block ×6, first 2 shown]
	v_mul_f32_e32 v69, 0x3fb8aa3b, v23
	v_mul_f32_e32 v70, 0x3fb8aa3b, v24
	;; [unrolled: 1-line block ×6, first 2 shown]
	v_fma_f32 v76, 0x3fb8aa3b, v23, -v69
	v_rndne_f32_e32 v77, v69
	v_fma_f32 v78, 0x3fb8aa3b, v24, -v70
	v_rndne_f32_e32 v79, v70
	;; [unrolled: 2-line block ×5, first 2 shown]
	v_cmp_ngt_f32_e64 s0, 0xc2ce8ed0, v24
	v_cmp_ngt_f32_e64 s1, 0xc2ce8ed0, v27
	;; [unrolled: 1-line block ×5, first 2 shown]
	v_cmp_nlt_f32_e64 s8, 0x42b17218, v24
	v_cmp_nlt_f32_e64 s9, 0x42b17218, v27
	v_cmp_nlt_f32_e64 s10, 0x42b17218, v25
	v_cmp_nlt_f32_e64 s11, 0x42b17218, v26
	v_cmp_nlt_f32_e64 s13, 0x42b17218, v23
	v_fma_f32 v94, 0x3fb8aa3b, v28, -v74
	v_rndne_f32_e32 v95, v74
	v_fmac_f32_e32 v76, 0x32a5705f, v23
	v_sub_f32_e32 v23, v69, v77
	v_fmac_f32_e32 v78, 0x32a5705f, v24
	v_sub_f32_e32 v24, v70, v79
	;; [unrolled: 2-line block ×5, first 2 shown]
	v_cmp_ngt_f32_e64 s6, 0xc2ce8ed0, v28
	v_cmp_nlt_f32_e64 s12, 0x42b17218, v28
	v_fmac_f32_e32 v94, 0x32a5705f, v28
	v_sub_f32_e32 v28, v74, v95
	v_add_f32_e32 v23, v23, v76
	v_add_f32_e32 v24, v24, v78
	;; [unrolled: 1-line block ×6, first 2 shown]
	v_exp_f32_e32 v23, v23
	v_exp_f32_e32 v24, v24
	;; [unrolled: 1-line block ×5, first 2 shown]
	v_cvt_i32_f32_e32 v69, v77
	v_cvt_i32_f32_e32 v70, v79
	;; [unrolled: 1-line block ×5, first 2 shown]
	v_exp_f32_e32 v28, v28
	v_cvt_i32_f32_e32 v74, v95
	v_ldexp_f32 v23, v23, v69
	v_ldexp_f32 v24, v24, v70
	;; [unrolled: 1-line block ×5, first 2 shown]
	v_cndmask_b32_e64 v23, 0, v23, s7
	v_cndmask_b32_e64 v24, 0, v24, s0
	;; [unrolled: 1-line block ×3, first 2 shown]
	v_ldexp_f32 v28, v28, v74
	v_cndmask_b32_e64 v25, 0, v25, s2
	v_cndmask_b32_e64 v26, 0, v26, s3
	;; [unrolled: 1-line block ×9, first 2 shown]
	v_cvt_f16_f32_e32 v28, v23
	v_add_f32_e32 v23, v23, v69
	v_cvt_f16_f32_e32 v70, v27
	v_cvt_f16_f32_e32 v69, v69
	;; [unrolled: 1-line block ×5, first 2 shown]
	v_mul_u32_u24_sdwa v74, v70, v48 dst_sel:DWORD dst_unused:UNUSED_PAD src0_sel:WORD_0 src1_sel:DWORD
	v_fmac_f32_e32 v23, v68, v27
	v_pack_b32_f16 v28, v28, v72
	v_pack_b32_f16 v68, v69, v73
	v_mul_u32_u24_sdwa v27, v71, v48 dst_sel:DWORD dst_unused:UNUSED_PAD src0_sel:WORD_0 src1_sel:DWORD
	v_pk_mul_f16 v72, v67, v74
	v_pk_mul_f16 v73, v65, v74
	;; [unrolled: 1-line block ×4, first 2 shown]
	ds_write2_b32 v47, v28, v68 offset1:32
	s_waitcnt vmcnt(1)
	ds_write_b128 v41, v[81:84]
	s_waitcnt vmcnt(0)
	ds_write_b128 v42, v[85:88]
	s_waitcnt lgkmcnt(0)
	s_barrier
	buffer_gl0_inv
	ds_read_b128 v[64:67], v1
	v_pk_mul_f16 v106, v59, v27
	v_pk_mul_f16 v107, v57, v27
	;; [unrolled: 1-line block ×4, first 2 shown]
	ds_read2_b64 v[56:59], v43 offset0:64 offset1:96
	ds_read2_b64 v[68:71], v43 offset1:32
	ds_read_b128 v[76:79], v1 offset:16
	ds_read2_b64 v[80:83], v43 offset0:128 offset1:160
	ds_read2_b64 v[84:87], v43 offset0:192 offset1:224
	ds_read2_b64 v[88:91], v49 offset1:32
	ds_read2_b64 v[92:95], v49 offset0:64 offset1:96
	ds_read2_b64 v[96:99], v49 offset0:128 offset1:160
	;; [unrolled: 1-line block ×3, first 2 shown]
	v_pk_mul_f16 v28, v63, v74
	v_pk_mul_f16 v60, v60, v74
	;; [unrolled: 1-line block ×6, first 2 shown]
	s_waitcnt lgkmcnt(9)
	v_mul_u32_u24_sdwa v110, v64, v48 dst_sel:DWORD dst_unused:UNUSED_PAD src0_sel:WORD_0 src1_sel:DWORD
	v_mul_u32_u24_sdwa v111, v64, v48 dst_sel:DWORD dst_unused:UNUSED_PAD src0_sel:WORD_1 src1_sel:DWORD
	v_mul_u32_u24_sdwa v112, v65, v48 dst_sel:DWORD dst_unused:UNUSED_PAD src0_sel:WORD_0 src1_sel:DWORD
	v_mul_u32_u24_sdwa v113, v65, v48 dst_sel:DWORD dst_unused:UNUSED_PAD src0_sel:WORD_1 src1_sel:DWORD
	v_mul_u32_u24_sdwa v114, v66, v48 dst_sel:DWORD dst_unused:UNUSED_PAD src0_sel:WORD_0 src1_sel:DWORD
	s_waitcnt lgkmcnt(8)
	v_pk_fma_f16 v105, v56, v110, v105
	v_pk_fma_f16 v54, v56, v111, v54
	;; [unrolled: 1-line block ×8, first 2 shown]
	s_waitcnt lgkmcnt(7)
	v_pk_fma_f16 v118, v69, v110, v72
	v_pk_fma_f16 v119, v70, v110, v73
	;; [unrolled: 1-line block ×3, first 2 shown]
	v_pk_mul_f16 v72, v68, v110
	v_pk_mul_f16 v110, v68, v111
	v_mul_u32_u24_sdwa v115, v66, v48 dst_sel:DWORD dst_unused:UNUSED_PAD src0_sel:WORD_1 src1_sel:DWORD
	v_pk_fma_f16 v106, v69, v111, v106
	v_pk_fma_f16 v107, v70, v111, v107
	v_pk_fma_f16 v108, v71, v111, v108
	v_pk_fma_f16 v62, v62, v74, v72
	s_waitcnt lgkmcnt(4)
	v_pk_fma_f16 v105, v84, v112, v105
	v_pk_fma_f16 v111, v84, v113, v54
	;; [unrolled: 1-line block ×9, first 2 shown]
	v_mul_u32_u24_sdwa v116, v67, v48 dst_sel:DWORD dst_unused:UNUSED_PAD src0_sel:WORD_0 src1_sel:DWORD
	v_mul_u32_u24_sdwa v117, v67, v48 dst_sel:DWORD dst_unused:UNUSED_PAD src0_sel:WORD_1 src1_sel:DWORD
	v_pk_fma_f16 v118, v81, v112, v118
	v_pk_fma_f16 v119, v82, v112, v119
	;; [unrolled: 1-line block ×8, first 2 shown]
	s_waitcnt lgkmcnt(2)
	v_pk_fma_f16 v105, v92, v114, v105
	v_pk_fma_f16 v92, v92, v115, v111
	;; [unrolled: 1-line block ×8, first 2 shown]
	ds_read2_b64 v[63:66], v50 offset1:32
	ds_read2_b64 v[56:59], v50 offset0:64 offset1:96
	ds_read2_b64 v[67:70], v50 offset0:128 offset1:160
	;; [unrolled: 1-line block ×3, first 2 shown]
	ds_read2_b64 v[84:87], v51 offset1:32
	v_mul_u32_u24_sdwa v110, v76, v48 dst_sel:DWORD dst_unused:UNUSED_PAD src0_sel:WORD_0 src1_sel:DWORD
	v_mul_u32_u24_sdwa v122, v76, v48 dst_sel:DWORD dst_unused:UNUSED_PAD src0_sel:WORD_1 src1_sel:DWORD
	v_mul_u32_u24_sdwa v112, v77, v48 dst_sel:DWORD dst_unused:UNUSED_PAD src0_sel:WORD_0 src1_sel:DWORD
	v_mul_u32_u24_sdwa v106, v77, v48 dst_sel:DWORD dst_unused:UNUSED_PAD src0_sel:WORD_1 src1_sel:DWORD
	;; [unrolled: 2-line block ×4, first 2 shown]
	ds_read2_b64 v[52:55], v51 offset0:64 offset1:96
	ds_read2_b64 v[76:79], v51 offset0:128 offset1:160
	v_pk_fma_f16 v109, v89, v114, v118
	v_pk_fma_f16 v111, v90, v114, v119
	;; [unrolled: 1-line block ×8, first 2 shown]
	ds_read2_b64 v[80:83], v51 offset0:192 offset1:224
	s_waitcnt lgkmcnt(0)
	s_barrier
	buffer_gl0_inv
	v_pk_fma_f16 v105, v100, v116, v105
	v_pk_fma_f16 v100, v100, v117, v92
	;; [unrolled: 1-line block ×8, first 2 shown]
	s_clause 0x1
	global_load_dwordx4 v[88:91], v[21:22], off
	global_load_dwordx4 v[92:95], v[21:22], off offset:512
	v_pk_fma_f16 v21, v97, v116, v109
	v_pk_fma_f16 v22, v97, v117, v118
	;; [unrolled: 1-line block ×72, first 2 shown]
	s_waitcnt vmcnt(1)
	ds_write_b128 v41, v[88:91]
	s_waitcnt vmcnt(0)
	ds_write_b128 v42, v[92:95]
	s_waitcnt lgkmcnt(0)
	s_barrier
	buffer_gl0_inv
	ds_read_b128 v[52:55], v1 offset:32
	ds_read2_b64 v[56:59], v43 offset1:32
	ds_read2_b64 v[60:63], v43 offset0:64 offset1:96
	ds_read_b128 v[64:67], v1 offset:48
	ds_read2_b64 v[68:71], v43 offset0:128 offset1:160
	ds_read2_b64 v[76:79], v43 offset0:192 offset1:224
	ds_read2_b64 v[80:83], v49 offset1:32
	ds_read2_b64 v[84:87], v49 offset0:64 offset1:96
	ds_read2_b64 v[88:91], v49 offset0:128 offset1:160
	;; [unrolled: 1-line block ×3, first 2 shown]
	ds_read2_b64 v[96:99], v50 offset1:32
	ds_read2_b64 v[100:103], v50 offset0:64 offset1:96
	ds_read2_b64 v[104:107], v50 offset0:128 offset1:160
	s_waitcnt lgkmcnt(12)
	v_mul_u32_u24_sdwa v117, v52, v48 dst_sel:DWORD dst_unused:UNUSED_PAD src0_sel:WORD_0 src1_sel:DWORD
	v_mul_u32_u24_sdwa v52, v52, v48 dst_sel:DWORD dst_unused:UNUSED_PAD src0_sel:WORD_1 src1_sel:DWORD
	v_mul_u32_u24_sdwa v118, v53, v48 dst_sel:DWORD dst_unused:UNUSED_PAD src0_sel:WORD_1 src1_sel:DWORD
	v_mul_u32_u24_sdwa v119, v54, v48 dst_sel:DWORD dst_unused:UNUSED_PAD src0_sel:WORD_0 src1_sel:DWORD
	v_mul_u32_u24_sdwa v120, v54, v48 dst_sel:DWORD dst_unused:UNUSED_PAD src0_sel:WORD_1 src1_sel:DWORD
	s_waitcnt lgkmcnt(11)
	v_pk_fma_f16 v113, v56, v117, v113
	v_pk_fma_f16 v27, v56, v52, v27
	v_pk_fma_f16 v21, v57, v117, v21
	v_pk_fma_f16 v22, v57, v52, v22
	v_pk_fma_f16 v72, v58, v117, v72
	v_pk_fma_f16 v74, v59, v117, v74
	s_waitcnt lgkmcnt(10)
	v_pk_fma_f16 v109, v60, v117, v109
	v_pk_fma_f16 v28, v61, v117, v28
	;; [unrolled: 1-line block ×4, first 2 shown]
	v_mul_u32_u24_sdwa v117, v53, v48 dst_sel:DWORD dst_unused:UNUSED_PAD src0_sel:WORD_0 src1_sel:DWORD
	v_pk_fma_f16 v73, v58, v52, v73
	v_pk_fma_f16 v108, v59, v52, v108
	;; [unrolled: 1-line block ×6, first 2 shown]
	s_waitcnt lgkmcnt(8)
	v_pk_fma_f16 v113, v68, v117, v113
	v_pk_fma_f16 v27, v68, v118, v27
	;; [unrolled: 1-line block ×8, first 2 shown]
	s_waitcnt lgkmcnt(7)
	v_pk_fma_f16 v109, v76, v117, v109
	v_pk_fma_f16 v110, v76, v118, v110
	;; [unrolled: 1-line block ×8, first 2 shown]
	v_mul_u32_u24_sdwa v121, v55, v48 dst_sel:DWORD dst_unused:UNUSED_PAD src0_sel:WORD_0 src1_sel:DWORD
	v_mul_u32_u24_sdwa v122, v55, v48 dst_sel:DWORD dst_unused:UNUSED_PAD src0_sel:WORD_1 src1_sel:DWORD
	s_waitcnt lgkmcnt(6)
	v_pk_fma_f16 v113, v80, v119, v113
	v_pk_fma_f16 v27, v80, v120, v27
	;; [unrolled: 1-line block ×4, first 2 shown]
	ds_read2_b64 v[56:59], v50 offset0:192 offset1:224
	ds_read2_b64 v[52:55], v51 offset1:32
	ds_read2_b64 v[60:63], v51 offset0:64 offset1:96
	ds_read2_b64 v[68:71], v51 offset0:128 offset1:160
	v_pk_fma_f16 v72, v82, v119, v72
	v_pk_fma_f16 v73, v82, v120, v73
	v_pk_fma_f16 v74, v83, v119, v74
	v_pk_fma_f16 v80, v83, v120, v108
	ds_read2_b64 v[76:79], v51 offset0:192 offset1:224
	s_waitcnt lgkmcnt(0)
	s_barrier
	buffer_gl0_inv
	v_mul_u32_u24_sdwa v81, v64, v48 dst_sel:DWORD dst_unused:UNUSED_PAD src0_sel:WORD_0 src1_sel:DWORD
	v_mul_u32_u24_sdwa v82, v64, v48 dst_sel:DWORD dst_unused:UNUSED_PAD src0_sel:WORD_1 src1_sel:DWORD
	v_pk_fma_f16 v83, v84, v119, v109
	v_pk_fma_f16 v28, v85, v119, v28
	;; [unrolled: 1-line block ×4, first 2 shown]
	v_mul_u32_u24_sdwa v112, v65, v48 dst_sel:DWORD dst_unused:UNUSED_PAD src0_sel:WORD_0 src1_sel:DWORD
	v_pk_fma_f16 v84, v84, v120, v110
	v_pk_fma_f16 v85, v85, v120, v111
	;; [unrolled: 1-line block ×4, first 2 shown]
	v_mul_u32_u24_sdwa v110, v65, v48 dst_sel:DWORD dst_unused:UNUSED_PAD src0_sel:WORD_1 src1_sel:DWORD
	v_mul_u32_u24_sdwa v111, v66, v48 dst_sel:DWORD dst_unused:UNUSED_PAD src0_sel:WORD_0 src1_sel:DWORD
	v_mul_u32_u24_sdwa v114, v66, v48 dst_sel:DWORD dst_unused:UNUSED_PAD src0_sel:WORD_1 src1_sel:DWORD
	v_mul_u32_u24_sdwa v115, v67, v48 dst_sel:DWORD dst_unused:UNUSED_PAD src0_sel:WORD_0 src1_sel:DWORD
	v_mul_u32_u24_sdwa v116, v67, v48 dst_sel:DWORD dst_unused:UNUSED_PAD src0_sel:WORD_1 src1_sel:DWORD
	global_load_dwordx4 v[64:67], v[19:20], off
	v_pk_fma_f16 v113, v88, v121, v113
	v_pk_fma_f16 v27, v88, v122, v27
	;; [unrolled: 1-line block ×4, first 2 shown]
	global_load_dwordx4 v[19:22], v[19:20], off offset:512
	v_pk_fma_f16 v72, v90, v121, v72
	v_pk_fma_f16 v73, v90, v122, v73
	;; [unrolled: 1-line block ×76, first 2 shown]
	s_waitcnt vmcnt(1)
	ds_write_b128 v41, v[64:67]
	s_waitcnt vmcnt(0)
	ds_write_b128 v42, v[19:22]
	s_waitcnt lgkmcnt(0)
	s_barrier
	buffer_gl0_inv
	ds_read_b128 v[19:22], v1 offset:64
	ds_read2_b64 v[52:55], v43 offset1:32
	ds_read2_b64 v[56:59], v43 offset0:64 offset1:96
	ds_read_b128 v[60:63], v1 offset:80
	ds_read2_b64 v[64:67], v43 offset0:128 offset1:160
	ds_read2_b64 v[68:71], v43 offset0:192 offset1:224
	ds_read2_b64 v[76:79], v49 offset1:32
	ds_read2_b64 v[80:83], v49 offset0:64 offset1:96
	ds_read2_b64 v[84:87], v49 offset0:128 offset1:160
	;; [unrolled: 1-line block ×3, first 2 shown]
	ds_read2_b64 v[92:95], v50 offset1:32
	ds_read2_b64 v[96:99], v50 offset0:64 offset1:96
	s_waitcnt lgkmcnt(11)
	v_mul_u32_u24_sdwa v111, v19, v48 dst_sel:DWORD dst_unused:UNUSED_PAD src0_sel:WORD_0 src1_sel:DWORD
	v_mul_u32_u24_sdwa v112, v19, v48 dst_sel:DWORD dst_unused:UNUSED_PAD src0_sel:WORD_1 src1_sel:DWORD
	v_mul_u32_u24_sdwa v113, v20, v48 dst_sel:DWORD dst_unused:UNUSED_PAD src0_sel:WORD_0 src1_sel:DWORD
	v_mul_u32_u24_sdwa v114, v20, v48 dst_sel:DWORD dst_unused:UNUSED_PAD src0_sel:WORD_1 src1_sel:DWORD
	v_mul_u32_u24_sdwa v115, v21, v48 dst_sel:DWORD dst_unused:UNUSED_PAD src0_sel:WORD_0 src1_sel:DWORD
	s_waitcnt lgkmcnt(10)
	v_pk_fma_f16 v100, v52, v111, v100
	v_pk_fma_f16 v27, v52, v112, v27
	v_pk_fma_f16 v101, v53, v111, v101
	v_pk_fma_f16 v102, v53, v112, v102
	v_pk_fma_f16 v72, v54, v111, v72
	v_pk_fma_f16 v103, v54, v112, v103
	v_pk_fma_f16 v73, v55, v111, v73
	v_pk_fma_f16 v104, v55, v112, v104
	s_waitcnt lgkmcnt(9)
	v_pk_fma_f16 v74, v56, v111, v74
	v_pk_fma_f16 v105, v56, v112, v105
	;; [unrolled: 1-line block ×8, first 2 shown]
	v_mul_u32_u24_sdwa v116, v21, v48 dst_sel:DWORD dst_unused:UNUSED_PAD src0_sel:WORD_1 src1_sel:DWORD
	s_waitcnt lgkmcnt(7)
	v_pk_fma_f16 v100, v64, v113, v100
	v_pk_fma_f16 v27, v64, v114, v27
	;; [unrolled: 1-line block ×8, first 2 shown]
	s_waitcnt lgkmcnt(6)
	v_pk_fma_f16 v74, v68, v113, v74
	v_pk_fma_f16 v28, v69, v113, v28
	;; [unrolled: 1-line block ×8, first 2 shown]
	v_mul_u32_u24_sdwa v117, v22, v48 dst_sel:DWORD dst_unused:UNUSED_PAD src0_sel:WORD_0 src1_sel:DWORD
	v_mul_u32_u24_sdwa v118, v22, v48 dst_sel:DWORD dst_unused:UNUSED_PAD src0_sel:WORD_1 src1_sel:DWORD
	ds_read2_b64 v[19:22], v50 offset0:128 offset1:160
	ds_read2_b64 v[52:55], v50 offset0:192 offset1:224
	ds_read2_b64 v[56:59], v51 offset1:32
	ds_read2_b64 v[64:67], v51 offset0:64 offset1:96
	v_mul_u32_u24_sdwa v111, v60, v48 dst_sel:DWORD dst_unused:UNUSED_PAD src0_sel:WORD_0 src1_sel:DWORD
	v_mul_u32_u24_sdwa v112, v60, v48 dst_sel:DWORD dst_unused:UNUSED_PAD src0_sel:WORD_1 src1_sel:DWORD
	v_mul_u32_u24_sdwa v113, v61, v48 dst_sel:DWORD dst_unused:UNUSED_PAD src0_sel:WORD_0 src1_sel:DWORD
	v_mul_u32_u24_sdwa v114, v61, v48 dst_sel:DWORD dst_unused:UNUSED_PAD src0_sel:WORD_1 src1_sel:DWORD
	;; [unrolled: 2-line block ×4, first 2 shown]
	ds_read2_b64 v[60:63], v51 offset0:128 offset1:160
	s_waitcnt lgkmcnt(10)
	v_pk_fma_f16 v100, v76, v115, v100
	v_pk_fma_f16 v27, v76, v116, v27
	v_pk_fma_f16 v101, v77, v115, v101
	v_pk_fma_f16 v102, v77, v116, v102
	v_pk_fma_f16 v72, v78, v115, v72
	v_pk_fma_f16 v103, v78, v116, v103
	v_pk_fma_f16 v73, v79, v115, v73
	v_pk_fma_f16 v104, v79, v116, v104
	ds_read2_b64 v[68:71], v51 offset0:192 offset1:224
	s_waitcnt lgkmcnt(0)
	s_barrier
	buffer_gl0_inv
	v_pk_fma_f16 v74, v80, v115, v74
	v_pk_fma_f16 v105, v80, v116, v105
	;; [unrolled: 1-line block ×8, first 2 shown]
	s_clause 0x1
	global_load_dwordx4 v[76:79], v[17:18], off
	global_load_dwordx4 v[80:83], v[17:18], off offset:512
	v_pk_fma_f16 v17, v84, v117, v100
	v_pk_fma_f16 v18, v84, v118, v27
	;; [unrolled: 1-line block ×80, first 2 shown]
	s_waitcnt vmcnt(1)
	ds_write_b128 v41, v[76:79]
	s_waitcnt vmcnt(0)
	ds_write_b128 v42, v[80:83]
	s_waitcnt lgkmcnt(0)
	s_barrier
	buffer_gl0_inv
	ds_read_b128 v[17:20], v1 offset:96
	ds_read2_b64 v[52:55], v43 offset1:32
	ds_read2_b64 v[56:59], v43 offset0:64 offset1:96
	ds_read_b128 v[60:63], v1 offset:112
	ds_read2_b64 v[64:67], v43 offset0:128 offset1:160
	ds_read2_b64 v[68:71], v43 offset0:192 offset1:224
	ds_read2_b64 v[76:79], v49 offset1:32
	ds_read2_b64 v[80:83], v49 offset0:64 offset1:96
	ds_read2_b64 v[84:87], v49 offset0:128 offset1:160
	;; [unrolled: 1-line block ×3, first 2 shown]
	ds_read2_b64 v[92:95], v50 offset1:32
	ds_read2_b64 v[96:99], v50 offset0:64 offset1:96
	ds_read2_b64 v[100:103], v50 offset0:128 offset1:160
	;; [unrolled: 1-line block ×3, first 2 shown]
	s_waitcnt lgkmcnt(13)
	v_mul_u32_u24_sdwa v117, v17, v48 dst_sel:DWORD dst_unused:UNUSED_PAD src0_sel:WORD_0 src1_sel:DWORD
	v_mul_u32_u24_sdwa v17, v17, v48 dst_sel:DWORD dst_unused:UNUSED_PAD src0_sel:WORD_1 src1_sel:DWORD
	v_mul_u32_u24_sdwa v118, v18, v48 dst_sel:DWORD dst_unused:UNUSED_PAD src0_sel:WORD_1 src1_sel:DWORD
	v_mul_u32_u24_sdwa v119, v19, v48 dst_sel:DWORD dst_unused:UNUSED_PAD src0_sel:WORD_0 src1_sel:DWORD
	v_mul_u32_u24_sdwa v120, v19, v48 dst_sel:DWORD dst_unused:UNUSED_PAD src0_sel:WORD_1 src1_sel:DWORD
	s_waitcnt lgkmcnt(12)
	v_pk_fma_f16 v72, v52, v117, v72
	v_pk_fma_f16 v73, v52, v17, v73
	;; [unrolled: 1-line block ×8, first 2 shown]
	s_waitcnt lgkmcnt(11)
	v_pk_fma_f16 v110, v56, v117, v110
	v_pk_fma_f16 v28, v57, v117, v28
	;; [unrolled: 1-line block ×4, first 2 shown]
	v_mul_u32_u24_sdwa v117, v18, v48 dst_sel:DWORD dst_unused:UNUSED_PAD src0_sel:WORD_0 src1_sel:DWORD
	v_pk_fma_f16 v111, v56, v17, v111
	v_pk_fma_f16 v112, v57, v17, v112
	v_pk_fma_f16 v114, v58, v17, v114
	v_pk_fma_f16 v116, v59, v17, v116
	s_waitcnt lgkmcnt(9)
	v_pk_fma_f16 v72, v64, v117, v72
	v_pk_fma_f16 v73, v64, v118, v73
	v_pk_fma_f16 v74, v65, v117, v74
	v_pk_fma_f16 v108, v65, v118, v108
	v_pk_fma_f16 v27, v66, v117, v27
	v_pk_fma_f16 v21, v66, v118, v21
	v_pk_fma_f16 v109, v67, v117, v109
	v_pk_fma_f16 v22, v67, v118, v22
	s_waitcnt lgkmcnt(8)
	v_pk_fma_f16 v110, v68, v117, v110
	v_pk_fma_f16 v111, v68, v118, v111
	;; [unrolled: 1-line block ×8, first 2 shown]
	ds_read2_b64 v[52:55], v51 offset1:32
	v_mul_u32_u24_sdwa v121, v20, v48 dst_sel:DWORD dst_unused:UNUSED_PAD src0_sel:WORD_0 src1_sel:DWORD
	v_mul_u32_u24_sdwa v122, v20, v48 dst_sel:DWORD dst_unused:UNUSED_PAD src0_sel:WORD_1 src1_sel:DWORD
	ds_read2_b64 v[17:20], v51 offset0:64 offset1:96
	ds_read2_b64 v[56:59], v51 offset0:128 offset1:160
	;; [unrolled: 1-line block ×3, first 2 shown]
	s_waitcnt lgkmcnt(0)
	s_barrier
	buffer_gl0_inv
	global_load_dwordx4 v[68:71], v[15:16], off
	v_pk_fma_f16 v72, v76, v119, v72
	v_pk_fma_f16 v73, v76, v120, v73
	;; [unrolled: 1-line block ×8, first 2 shown]
	v_mul_u32_u24_sdwa v78, v60, v48 dst_sel:DWORD dst_unused:UNUSED_PAD src0_sel:WORD_0 src1_sel:DWORD
	v_mul_u32_u24_sdwa v79, v60, v48 dst_sel:DWORD dst_unused:UNUSED_PAD src0_sel:WORD_1 src1_sel:DWORD
	v_pk_fma_f16 v108, v80, v119, v110
	v_pk_fma_f16 v28, v81, v119, v28
	;; [unrolled: 1-line block ×4, first 2 shown]
	v_mul_u32_u24_sdwa v113, v61, v48 dst_sel:DWORD dst_unused:UNUSED_PAD src0_sel:WORD_0 src1_sel:DWORD
	v_pk_fma_f16 v80, v80, v120, v111
	v_pk_fma_f16 v81, v81, v120, v112
	;; [unrolled: 1-line block ×4, first 2 shown]
	v_mul_u32_u24_sdwa v111, v61, v48 dst_sel:DWORD dst_unused:UNUSED_PAD src0_sel:WORD_1 src1_sel:DWORD
	v_mul_u32_u24_sdwa v112, v62, v48 dst_sel:DWORD dst_unused:UNUSED_PAD src0_sel:WORD_0 src1_sel:DWORD
	v_mul_u32_u24_sdwa v114, v62, v48 dst_sel:DWORD dst_unused:UNUSED_PAD src0_sel:WORD_1 src1_sel:DWORD
	v_mul_u32_u24_sdwa v115, v63, v48 dst_sel:DWORD dst_unused:UNUSED_PAD src0_sel:WORD_0 src1_sel:DWORD
	v_mul_u32_u24_sdwa v116, v63, v48 dst_sel:DWORD dst_unused:UNUSED_PAD src0_sel:WORD_1 src1_sel:DWORD
	global_load_dwordx4 v[60:63], v[15:16], off offset:512
	v_pk_fma_f16 v15, v84, v121, v72
	v_pk_fma_f16 v16, v84, v122, v73
	;; [unrolled: 1-line block ×80, first 2 shown]
	s_waitcnt vmcnt(1)
	ds_write_b128 v41, v[68:71]
	s_waitcnt vmcnt(0)
	ds_write_b128 v42, v[60:63]
	s_waitcnt lgkmcnt(0)
	s_barrier
	buffer_gl0_inv
	ds_read_b128 v[15:18], v1 offset:128
	ds_read2_b64 v[19:22], v43 offset1:32
	ds_read2_b64 v[52:55], v43 offset0:64 offset1:96
	ds_read_b128 v[56:59], v1 offset:144
	ds_read2_b64 v[60:63], v43 offset0:128 offset1:160
	ds_read2_b64 v[64:67], v43 offset0:192 offset1:224
	ds_read2_b64 v[68:71], v49 offset1:32
	ds_read2_b64 v[76:79], v49 offset0:64 offset1:96
	ds_read2_b64 v[80:83], v49 offset0:128 offset1:160
	;; [unrolled: 1-line block ×3, first 2 shown]
	ds_read2_b64 v[88:91], v50 offset1:32
	ds_read2_b64 v[92:95], v50 offset0:64 offset1:96
	ds_read2_b64 v[96:99], v50 offset0:128 offset1:160
	;; [unrolled: 1-line block ×3, first 2 shown]
	s_waitcnt lgkmcnt(13)
	v_mul_u32_u24_sdwa v115, v15, v48 dst_sel:DWORD dst_unused:UNUSED_PAD src0_sel:WORD_0 src1_sel:DWORD
	v_mul_u32_u24_sdwa v15, v15, v48 dst_sel:DWORD dst_unused:UNUSED_PAD src0_sel:WORD_1 src1_sel:DWORD
	v_mul_u32_u24_sdwa v116, v17, v48 dst_sel:DWORD dst_unused:UNUSED_PAD src0_sel:WORD_1 src1_sel:DWORD
	v_mul_u32_u24_sdwa v117, v18, v48 dst_sel:DWORD dst_unused:UNUSED_PAD src0_sel:WORD_0 src1_sel:DWORD
	v_mul_u32_u24_sdwa v118, v18, v48 dst_sel:DWORD dst_unused:UNUSED_PAD src0_sel:WORD_1 src1_sel:DWORD
	s_waitcnt lgkmcnt(12)
	v_pk_fma_f16 v74, v19, v115, v74
	v_pk_fma_f16 v104, v19, v15, v104
	;; [unrolled: 1-line block ×8, first 2 shown]
	s_waitcnt lgkmcnt(11)
	v_pk_fma_f16 v111, v52, v15, v111
	v_pk_fma_f16 v112, v53, v15, v112
	;; [unrolled: 1-line block ×4, first 2 shown]
	v_mul_u32_u24_sdwa v114, v16, v48 dst_sel:DWORD dst_unused:UNUSED_PAD src0_sel:WORD_0 src1_sel:DWORD
	v_mul_u32_u24_sdwa v16, v16, v48 dst_sel:DWORD dst_unused:UNUSED_PAD src0_sel:WORD_1 src1_sel:DWORD
	v_pk_fma_f16 v110, v52, v115, v110
	v_pk_fma_f16 v28, v53, v115, v28
	v_pk_fma_f16 v72, v54, v115, v72
	v_pk_fma_f16 v73, v55, v115, v73
	s_waitcnt lgkmcnt(9)
	v_pk_fma_f16 v74, v60, v114, v74
	v_pk_fma_f16 v104, v60, v16, v104
	;; [unrolled: 1-line block ×8, first 2 shown]
	v_mul_u32_u24_sdwa v115, v17, v48 dst_sel:DWORD dst_unused:UNUSED_PAD src0_sel:WORD_0 src1_sel:DWORD
	ds_read2_b64 v[19:22], v51 offset1:32
	ds_read2_b64 v[52:55], v51 offset0:64 offset1:96
	ds_read2_b64 v[60:63], v51 offset0:128 offset1:160
	s_waitcnt lgkmcnt(11)
	v_pk_fma_f16 v110, v64, v114, v110
	v_pk_fma_f16 v28, v65, v114, v28
	;; [unrolled: 1-line block ×8, first 2 shown]
	ds_read2_b64 v[64:67], v51 offset0:192 offset1:224
	s_waitcnt lgkmcnt(0)
	s_barrier
	buffer_gl0_inv
	global_load_dwordx4 v[15:18], v[11:12], off
	v_pk_fma_f16 v74, v68, v115, v74
	v_pk_fma_f16 v104, v68, v116, v104
	;; [unrolled: 1-line block ×8, first 2 shown]
	global_load_dwordx4 v[68:71], v[11:12], off offset:512
	v_mul_u32_u24_sdwa v11, v56, v48 dst_sel:DWORD dst_unused:UNUSED_PAD src0_sel:WORD_0 src1_sel:DWORD
	v_mul_u32_u24_sdwa v12, v56, v48 dst_sel:DWORD dst_unused:UNUSED_PAD src0_sel:WORD_1 src1_sel:DWORD
	v_pk_fma_f16 v56, v76, v115, v110
	v_pk_fma_f16 v28, v77, v115, v28
	v_pk_fma_f16 v72, v78, v115, v72
	v_pk_fma_f16 v73, v79, v115, v73
	v_pk_fma_f16 v76, v76, v116, v111
	v_pk_fma_f16 v77, v77, v116, v112
	v_pk_fma_f16 v78, v78, v116, v113
	v_pk_fma_f16 v79, v79, v116, v114
	v_pk_fma_f16 v74, v80, v117, v74
	v_pk_fma_f16 v80, v80, v118, v104
	v_pk_fma_f16 v104, v81, v117, v105
	v_pk_fma_f16 v81, v81, v118, v106
	v_pk_fma_f16 v27, v82, v117, v27
	v_pk_fma_f16 v82, v82, v118, v107
	v_pk_fma_f16 v105, v83, v117, v108
	v_pk_fma_f16 v83, v83, v118, v109
	v_pk_fma_f16 v56, v84, v117, v56
	v_pk_fma_f16 v76, v84, v118, v76
	v_pk_fma_f16 v28, v85, v117, v28
	v_pk_fma_f16 v77, v85, v118, v77
	v_pk_fma_f16 v72, v86, v117, v72
	v_pk_fma_f16 v78, v86, v118, v78
	v_pk_fma_f16 v73, v87, v117, v73
	v_pk_fma_f16 v79, v87, v118, v79
	v_mul_u32_u24_sdwa v110, v57, v48 dst_sel:DWORD dst_unused:UNUSED_PAD src0_sel:WORD_0 src1_sel:DWORD
	v_mul_u32_u24_sdwa v57, v57, v48 dst_sel:DWORD dst_unused:UNUSED_PAD src0_sel:WORD_1 src1_sel:DWORD
	v_pk_fma_f16 v74, v88, v11, v74
	v_pk_fma_f16 v80, v88, v12, v80
	v_pk_fma_f16 v84, v89, v11, v104
	v_pk_fma_f16 v81, v89, v12, v81
	v_pk_fma_f16 v27, v90, v11, v27
	v_pk_fma_f16 v82, v90, v12, v82
	v_pk_fma_f16 v85, v91, v11, v105
	v_pk_fma_f16 v83, v91, v12, v83
	v_pk_fma_f16 v56, v92, v11, v56
	v_pk_fma_f16 v76, v92, v12, v76
	v_pk_fma_f16 v28, v93, v11, v28
	v_pk_fma_f16 v77, v93, v12, v77
	v_pk_fma_f16 v72, v94, v11, v72
	v_pk_fma_f16 v78, v94, v12, v78
	v_pk_fma_f16 v11, v95, v11, v73
	v_pk_fma_f16 v12, v95, v12, v79
	v_mul_u32_u24_sdwa v111, v58, v48 dst_sel:DWORD dst_unused:UNUSED_PAD src0_sel:WORD_0 src1_sel:DWORD
	v_mul_u32_u24_sdwa v58, v58, v48 dst_sel:DWORD dst_unused:UNUSED_PAD src0_sel:WORD_1 src1_sel:DWORD
	v_pk_fma_f16 v73, v96, v110, v74
	v_pk_fma_f16 v74, v96, v57, v80
	v_pk_fma_f16 v79, v97, v110, v84
	v_pk_fma_f16 v80, v97, v57, v81
	v_pk_fma_f16 v27, v98, v110, v27
	v_pk_fma_f16 v81, v98, v57, v82
	v_pk_fma_f16 v82, v99, v110, v85
	v_pk_fma_f16 v83, v99, v57, v83
	v_pk_fma_f16 v56, v100, v110, v56
	v_pk_fma_f16 v76, v100, v57, v76
	v_pk_fma_f16 v28, v101, v110, v28
	v_pk_fma_f16 v77, v101, v57, v77
	v_pk_fma_f16 v72, v102, v110, v72
	v_pk_fma_f16 v78, v102, v57, v78
	v_pk_fma_f16 v11, v103, v110, v11
	v_pk_fma_f16 v12, v103, v57, v12
	;; [unrolled: 18-line block ×3, first 2 shown]
	v_pk_fma_f16 v108, v60, v112, v57
	v_pk_fma_f16 v109, v60, v59, v19
	;; [unrolled: 1-line block ×16, first 2 shown]
	s_waitcnt vmcnt(1)
	ds_write_b128 v41, v[15:18]
	s_waitcnt vmcnt(0)
	ds_write_b128 v42, v[68:71]
	s_waitcnt lgkmcnt(0)
	s_barrier
	buffer_gl0_inv
	ds_read_b128 v[15:18], v1 offset:160
	ds_read2_b64 v[19:22], v43 offset1:32
	ds_read2_b64 v[52:55], v43 offset0:64 offset1:96
	ds_read_b128 v[56:59], v1 offset:176
	ds_read2_b64 v[60:63], v43 offset0:128 offset1:160
	ds_read2_b64 v[64:67], v43 offset0:192 offset1:224
	ds_read2_b64 v[68:71], v49 offset1:32
	ds_read2_b64 v[76:79], v49 offset0:64 offset1:96
	ds_read2_b64 v[80:83], v49 offset0:128 offset1:160
	;; [unrolled: 1-line block ×3, first 2 shown]
	ds_read2_b64 v[88:91], v50 offset1:32
	ds_read2_b64 v[92:95], v50 offset0:64 offset1:96
	ds_read2_b64 v[96:99], v50 offset0:128 offset1:160
	;; [unrolled: 1-line block ×3, first 2 shown]
	ds_read2_b64 v[104:107], v51 offset1:32
	s_waitcnt lgkmcnt(14)
	v_mul_u32_u24_sdwa v112, v15, v48 dst_sel:DWORD dst_unused:UNUSED_PAD src0_sel:WORD_0 src1_sel:DWORD
	v_mul_u32_u24_sdwa v15, v15, v48 dst_sel:DWORD dst_unused:UNUSED_PAD src0_sel:WORD_1 src1_sel:DWORD
	s_waitcnt lgkmcnt(13)
	v_pk_fma_f16 v108, v19, v112, v108
	v_pk_fma_f16 v109, v19, v15, v109
	;; [unrolled: 1-line block ×8, first 2 shown]
	s_waitcnt lgkmcnt(12)
	v_pk_fma_f16 v114, v52, v112, v114
	v_pk_fma_f16 v28, v53, v112, v28
	;; [unrolled: 1-line block ×8, first 2 shown]
	v_mul_u32_u24_sdwa v15, v16, v48 dst_sel:DWORD dst_unused:UNUSED_PAD src0_sel:WORD_0 src1_sel:DWORD
	v_mul_u32_u24_sdwa v16, v16, v48 dst_sel:DWORD dst_unused:UNUSED_PAD src0_sel:WORD_1 src1_sel:DWORD
	ds_read2_b64 v[19:22], v51 offset0:64 offset1:96
	ds_read2_b64 v[52:55], v51 offset0:128 offset1:160
	s_waitcnt lgkmcnt(12)
	v_pk_fma_f16 v117, v60, v15, v108
	v_pk_fma_f16 v118, v60, v16, v109
	;; [unrolled: 1-line block ×8, first 2 shown]
	ds_read2_b64 v[60:63], v51 offset0:192 offset1:224
	s_waitcnt lgkmcnt(0)
	s_barrier
	buffer_gl0_inv
	v_pk_fma_f16 v114, v64, v15, v114
	v_pk_fma_f16 v28, v65, v15, v28
	;; [unrolled: 1-line block ×8, first 2 shown]
	s_clause 0x1
	global_load_dwordx4 v[64:67], v[9:10], off
	global_load_dwordx4 v[108:111], v[9:10], off offset:512
	v_add_f32_e32 v10, v24, v26
	v_mul_u32_u24_sdwa v16, v17, v48 dst_sel:DWORD dst_unused:UNUSED_PAD src0_sel:WORD_0 src1_sel:DWORD
	v_mul_u32_u24_sdwa v17, v17, v48 dst_sel:DWORD dst_unused:UNUSED_PAD src0_sel:WORD_1 src1_sel:DWORD
	v_mul_u32_u24_sdwa v24, v18, v48 dst_sel:DWORD dst_unused:UNUSED_PAD src0_sel:WORD_0 src1_sel:DWORD
	v_mul_u32_u24_sdwa v18, v18, v48 dst_sel:DWORD dst_unused:UNUSED_PAD src0_sel:WORD_1 src1_sel:DWORD
	v_fmac_f32_e32 v10, v75, v25
	v_pk_fma_f16 v75, v68, v16, v117
	v_pk_fma_f16 v68, v68, v17, v118
	v_pk_fma_f16 v73, v69, v16, v73
	v_pk_fma_f16 v69, v69, v17, v119
	v_pk_fma_f16 v27, v70, v16, v27
	v_pk_fma_f16 v70, v70, v17, v120
	v_pk_fma_f16 v74, v71, v16, v74
	v_pk_fma_f16 v71, v71, v17, v113
	v_pk_fma_f16 v114, v76, v16, v114
	v_pk_fma_f16 v15, v76, v17, v15
	v_pk_fma_f16 v28, v77, v16, v28
	v_pk_fma_f16 v76, v77, v17, v112
	v_pk_fma_f16 v72, v78, v16, v72
	v_pk_fma_f16 v77, v78, v17, v115
	v_pk_fma_f16 v11, v79, v16, v11
	v_pk_fma_f16 v12, v79, v17, v12
	v_mul_u32_u24_sdwa v25, v56, v48 dst_sel:DWORD dst_unused:UNUSED_PAD src0_sel:WORD_0 src1_sel:DWORD
	v_mul_u32_u24_sdwa v26, v56, v48 dst_sel:DWORD dst_unused:UNUSED_PAD src0_sel:WORD_1 src1_sel:DWORD
	v_pk_fma_f16 v16, v80, v24, v75
	v_pk_fma_f16 v17, v80, v18, v68
	v_pk_fma_f16 v68, v81, v24, v73
	v_pk_fma_f16 v69, v81, v18, v69
	v_pk_fma_f16 v27, v82, v24, v27
	v_pk_fma_f16 v70, v82, v18, v70
	v_pk_fma_f16 v73, v83, v24, v74
	v_pk_fma_f16 v71, v83, v18, v71
	v_pk_fma_f16 v74, v84, v24, v114
	v_pk_fma_f16 v15, v84, v18, v15
	v_pk_fma_f16 v28, v85, v24, v28
	v_pk_fma_f16 v75, v85, v18, v76
	v_pk_fma_f16 v72, v86, v24, v72
	v_pk_fma_f16 v76, v86, v18, v77
	v_pk_fma_f16 v11, v87, v24, v11
	v_pk_fma_f16 v12, v87, v18, v12
	v_mul_u32_u24_sdwa v56, v57, v48 dst_sel:DWORD dst_unused:UNUSED_PAD src0_sel:WORD_0 src1_sel:DWORD
	v_mul_u32_u24_sdwa v57, v57, v48 dst_sel:DWORD dst_unused:UNUSED_PAD src0_sel:WORD_1 src1_sel:DWORD
	v_pk_fma_f16 v16, v88, v25, v16
	v_pk_fma_f16 v17, v88, v26, v17
	v_pk_fma_f16 v18, v89, v25, v68
	v_pk_fma_f16 v24, v89, v26, v69
	v_pk_fma_f16 v27, v90, v25, v27
	v_pk_fma_f16 v68, v90, v26, v70
	v_pk_fma_f16 v69, v91, v25, v73
	v_pk_fma_f16 v70, v91, v26, v71
	v_pk_fma_f16 v71, v92, v25, v74
	v_pk_fma_f16 v15, v92, v26, v15
	v_pk_fma_f16 v28, v93, v25, v28
	v_pk_fma_f16 v73, v93, v26, v75
	v_pk_fma_f16 v72, v94, v25, v72
	v_pk_fma_f16 v74, v94, v26, v76
	v_pk_fma_f16 v11, v95, v25, v11
	v_pk_fma_f16 v12, v95, v26, v12
	v_mul_u32_u24_sdwa v113, v58, v48 dst_sel:DWORD dst_unused:UNUSED_PAD src0_sel:WORD_0 src1_sel:DWORD
	v_mul_u32_u24_sdwa v58, v58, v48 dst_sel:DWORD dst_unused:UNUSED_PAD src0_sel:WORD_1 src1_sel:DWORD
	v_pk_fma_f16 v16, v96, v56, v16
	v_pk_fma_f16 v17, v96, v57, v17
	v_pk_fma_f16 v18, v97, v56, v18
	v_pk_fma_f16 v24, v97, v57, v24
	v_pk_fma_f16 v25, v98, v56, v27
	v_pk_fma_f16 v26, v98, v57, v68
	v_pk_fma_f16 v27, v99, v56, v69
	v_pk_fma_f16 v68, v99, v57, v70
	v_pk_fma_f16 v69, v100, v56, v71
	v_pk_fma_f16 v15, v100, v57, v15
	v_pk_fma_f16 v28, v101, v56, v28
	v_pk_fma_f16 v70, v101, v57, v73
	v_pk_fma_f16 v71, v102, v56, v72
	v_pk_fma_f16 v72, v102, v57, v74
	v_pk_fma_f16 v11, v103, v56, v11
	v_pk_fma_f16 v12, v103, v57, v12
	v_mul_u32_u24_sdwa v116, v59, v48 dst_sel:DWORD dst_unused:UNUSED_PAD src0_sel:WORD_0 src1_sel:DWORD
	v_mul_u32_u24_sdwa v59, v59, v48 dst_sel:DWORD dst_unused:UNUSED_PAD src0_sel:WORD_1 src1_sel:DWORD
	v_pk_fma_f16 v16, v104, v113, v16
	v_pk_fma_f16 v17, v104, v58, v17
	v_pk_fma_f16 v18, v105, v113, v18
	v_pk_fma_f16 v24, v105, v58, v24
	v_pk_fma_f16 v25, v106, v113, v25
	v_pk_fma_f16 v26, v106, v58, v26
	v_pk_fma_f16 v27, v107, v113, v27
	v_pk_fma_f16 v56, v107, v58, v68
	v_pk_fma_f16 v57, v19, v113, v69
	v_pk_fma_f16 v15, v19, v58, v15
	v_pk_fma_f16 v19, v20, v113, v28
	v_pk_fma_f16 v20, v20, v58, v70
	v_pk_fma_f16 v28, v21, v113, v71
	v_pk_fma_f16 v21, v21, v58, v72
	v_pk_fma_f16 v11, v22, v113, v11
	v_pk_fma_f16 v12, v22, v58, v12
	v_pk_fma_f16 v104, v52, v116, v16
	v_pk_fma_f16 v105, v52, v59, v17
	v_pk_fma_f16 v106, v53, v116, v18
	v_pk_fma_f16 v107, v53, v59, v24
	v_pk_fma_f16 v112, v54, v116, v25
	v_pk_fma_f16 v113, v54, v59, v26
	v_pk_fma_f16 v114, v55, v116, v27
	v_pk_fma_f16 v115, v55, v59, v56
	v_pk_fma_f16 v117, v60, v116, v57
	v_pk_fma_f16 v118, v60, v59, v15
	v_pk_fma_f16 v119, v61, v116, v19
	v_pk_fma_f16 v120, v61, v59, v20
	v_pk_fma_f16 v28, v62, v116, v28
	v_pk_fma_f16 v121, v62, v59, v21
	v_pk_fma_f16 v11, v63, v116, v11
	v_pk_fma_f16 v12, v63, v59, v12
	s_waitcnt vmcnt(1)
	ds_write_b128 v41, v[64:67]
	s_waitcnt vmcnt(0)
	ds_write_b128 v42, v[108:111]
	s_waitcnt lgkmcnt(0)
	s_barrier
	buffer_gl0_inv
	ds_read_b128 v[15:18], v1 offset:192
	ds_read2_b64 v[19:22], v43 offset1:32
	ds_read2_b64 v[24:27], v43 offset0:64 offset1:96
	ds_read_b128 v[52:55], v1 offset:208
	ds_read2_b64 v[56:59], v43 offset0:128 offset1:160
	ds_read2_b64 v[60:63], v43 offset0:192 offset1:224
	ds_read2_b64 v[64:67], v49 offset1:32
	ds_read2_b64 v[68:71], v49 offset0:64 offset1:96
	ds_read2_b64 v[72:75], v49 offset0:128 offset1:160
	ds_read2_b64 v[76:79], v49 offset0:192 offset1:224
	ds_read2_b64 v[80:83], v50 offset1:32
	ds_read2_b64 v[84:87], v50 offset0:64 offset1:96
	;; [unrolled: 4-line block ×3, first 2 shown]
	v_add_co_ci_u32_e64 v9, null, s19, v45, vcc_lo
	s_waitcnt lgkmcnt(15)
	v_mul_u32_u24_sdwa v108, v15, v48 dst_sel:DWORD dst_unused:UNUSED_PAD src0_sel:WORD_0 src1_sel:DWORD
	v_mul_u32_u24_sdwa v109, v15, v48 dst_sel:DWORD dst_unused:UNUSED_PAD src0_sel:WORD_1 src1_sel:DWORD
	v_mul_u32_u24_sdwa v110, v16, v48 dst_sel:DWORD dst_unused:UNUSED_PAD src0_sel:WORD_0 src1_sel:DWORD
	v_mul_u32_u24_sdwa v116, v17, v48 dst_sel:DWORD dst_unused:UNUSED_PAD src0_sel:WORD_0 src1_sel:DWORD
	v_mul_u32_u24_sdwa v122, v17, v48 dst_sel:DWORD dst_unused:UNUSED_PAD src0_sel:WORD_1 src1_sel:DWORD
	s_waitcnt lgkmcnt(14)
	v_pk_fma_f16 v104, v19, v108, v104
	v_pk_fma_f16 v105, v19, v109, v105
	;; [unrolled: 1-line block ×8, first 2 shown]
	v_mul_u32_u24_sdwa v115, v16, v48 dst_sel:DWORD dst_unused:UNUSED_PAD src0_sel:WORD_1 src1_sel:DWORD
	s_waitcnt lgkmcnt(13)
	v_pk_fma_f16 v117, v24, v108, v117
	v_pk_fma_f16 v119, v25, v108, v119
	;; [unrolled: 1-line block ×8, first 2 shown]
	v_mul_u32_u24_sdwa v123, v18, v48 dst_sel:DWORD dst_unused:UNUSED_PAD src0_sel:WORD_0 src1_sel:DWORD
	v_mul_u32_u24_sdwa v124, v18, v48 dst_sel:DWORD dst_unused:UNUSED_PAD src0_sel:WORD_1 src1_sel:DWORD
	ds_read2_b64 v[15:18], v51 offset0:128 offset1:160
	ds_read2_b64 v[19:22], v51 offset0:192 offset1:224
	s_waitcnt lgkmcnt(0)
	s_barrier
	buffer_gl0_inv
	global_load_dwordx4 v[24:27], v[8:9], off
	v_pk_fma_f16 v104, v56, v110, v104
	v_pk_fma_f16 v56, v56, v115, v105
	;; [unrolled: 1-line block ×8, first 2 shown]
	v_mul_u32_u24_sdwa v109, v52, v48 dst_sel:DWORD dst_unused:UNUSED_PAD src0_sel:WORD_0 src1_sel:DWORD
	v_pk_fma_f16 v111, v60, v110, v117
	v_pk_fma_f16 v112, v61, v110, v119
	;; [unrolled: 1-line block ×4, first 2 shown]
	v_mul_u32_u24_sdwa v110, v52, v48 dst_sel:DWORD dst_unused:UNUSED_PAD src0_sel:WORD_1 src1_sel:DWORD
	v_pk_fma_f16 v60, v60, v115, v108
	v_pk_fma_f16 v61, v61, v115, v118
	;; [unrolled: 1-line block ×4, first 2 shown]
	v_mul_u32_u24_sdwa v63, v53, v48 dst_sel:DWORD dst_unused:UNUSED_PAD src0_sel:WORD_0 src1_sel:DWORD
	v_mul_u32_u24_sdwa v108, v53, v48 dst_sel:DWORD dst_unused:UNUSED_PAD src0_sel:WORD_1 src1_sel:DWORD
	v_mul_u32_u24_sdwa v113, v54, v48 dst_sel:DWORD dst_unused:UNUSED_PAD src0_sel:WORD_0 src1_sel:DWORD
	v_mul_u32_u24_sdwa v114, v54, v48 dst_sel:DWORD dst_unused:UNUSED_PAD src0_sel:WORD_1 src1_sel:DWORD
	;; [unrolled: 2-line block ×3, first 2 shown]
	global_load_dwordx4 v[52:55], v[8:9], off offset:512
	v_pk_fma_f16 v8, v64, v116, v104
	v_pk_fma_f16 v9, v64, v122, v56
	;; [unrolled: 1-line block ×96, first 2 shown]
	s_waitcnt vmcnt(1)
	ds_write_b128 v41, v[24:27]
	s_waitcnt vmcnt(0)
	ds_write_b128 v42, v[52:55]
	s_waitcnt lgkmcnt(0)
	s_barrier
	buffer_gl0_inv
	ds_read_b128 v[15:18], v1 offset:224
	ds_read2_b64 v[19:22], v43 offset1:32
	ds_read2_b64 v[24:27], v43 offset0:64 offset1:96
	ds_read_b128 v[52:55], v1 offset:240
	ds_read2_b64 v[56:59], v43 offset0:128 offset1:160
	ds_read2_b64 v[60:63], v43 offset0:192 offset1:224
	ds_read2_b64 v[64:67], v49 offset1:32
	ds_read2_b64 v[68:71], v49 offset0:64 offset1:96
	ds_read2_b64 v[72:75], v49 offset0:128 offset1:160
	ds_read2_b64 v[76:79], v49 offset0:192 offset1:224
	ds_read2_b64 v[80:83], v50 offset1:32
	ds_read2_b64 v[84:87], v50 offset0:64 offset1:96
	;; [unrolled: 4-line block ×3, first 2 shown]
	s_waitcnt lgkmcnt(15)
	v_mul_u32_u24_sdwa v115, v15, v48 dst_sel:DWORD dst_unused:UNUSED_PAD src0_sel:WORD_0 src1_sel:DWORD
	v_mul_u32_u24_sdwa v15, v15, v48 dst_sel:DWORD dst_unused:UNUSED_PAD src0_sel:WORD_1 src1_sel:DWORD
	s_waitcnt lgkmcnt(14)
	v_pk_fma_f16 v8, v19, v115, v8
	v_pk_fma_f16 v9, v19, v15, v9
	;; [unrolled: 1-line block ×8, first 2 shown]
	s_waitcnt lgkmcnt(13)
	v_pk_fma_f16 v110, v24, v115, v110
	v_pk_fma_f16 v112, v25, v115, v112
	;; [unrolled: 1-line block ×8, first 2 shown]
	v_mul_u32_u24_sdwa v15, v16, v48 dst_sel:DWORD dst_unused:UNUSED_PAD src0_sel:WORD_0 src1_sel:DWORD
	v_mul_u32_u24_sdwa v16, v16, v48 dst_sel:DWORD dst_unused:UNUSED_PAD src0_sel:WORD_1 src1_sel:DWORD
	v_mul_u32_u24_sdwa v27, v17, v48 dst_sel:DWORD dst_unused:UNUSED_PAD src0_sel:WORD_0 src1_sel:DWORD
	v_mul_u32_u24_sdwa v17, v17, v48 dst_sel:DWORD dst_unused:UNUSED_PAD src0_sel:WORD_1 src1_sel:DWORD
	v_mul_u32_u24_sdwa v111, v18, v48 dst_sel:DWORD dst_unused:UNUSED_PAD src0_sel:WORD_0 src1_sel:DWORD
	s_waitcnt lgkmcnt(11)
	v_pk_fma_f16 v8, v56, v15, v8
	v_pk_fma_f16 v9, v56, v16, v9
	;; [unrolled: 1-line block ×8, first 2 shown]
	v_mul_u32_u24_sdwa v116, v55, v48 dst_sel:DWORD dst_unused:UNUSED_PAD src0_sel:WORD_0 src1_sel:DWORD
	v_mul_u32_u24_sdwa v117, v55, v48 dst_sel:DWORD dst_unused:UNUSED_PAD src0_sel:WORD_1 src1_sel:DWORD
	s_waitcnt lgkmcnt(10)
	v_pk_fma_f16 v55, v60, v15, v110
	v_pk_fma_f16 v24, v60, v16, v24
	;; [unrolled: 1-line block ×8, first 2 shown]
	v_mul_u32_u24_sdwa v18, v18, v48 dst_sel:DWORD dst_unused:UNUSED_PAD src0_sel:WORD_1 src1_sel:DWORD
	s_waitcnt lgkmcnt(9)
	v_pk_fma_f16 v8, v64, v27, v8
	v_pk_fma_f16 v9, v64, v17, v9
	;; [unrolled: 1-line block ×8, first 2 shown]
	s_waitcnt lgkmcnt(8)
	v_pk_fma_f16 v55, v68, v27, v55
	v_pk_fma_f16 v24, v68, v17, v24
	;; [unrolled: 1-line block ×8, first 2 shown]
	ds_read2_b64 v[19:22], v51 offset0:128 offset1:160
	ds_read2_b64 v[104:107], v51 offset0:192 offset1:224
	s_waitcnt lgkmcnt(0)
	s_barrier
	buffer_gl0_inv
	s_load_dword s0, s[14:15], 0x4
	v_mul_u32_u24_sdwa v113, v52, v48 dst_sel:DWORD dst_unused:UNUSED_PAD src0_sel:WORD_0 src1_sel:DWORD
	v_mul_u32_u24_sdwa v52, v52, v48 dst_sel:DWORD dst_unused:UNUSED_PAD src0_sel:WORD_1 src1_sel:DWORD
	v_pk_fma_f16 v8, v72, v111, v8
	v_pk_fma_f16 v9, v72, v18, v9
	v_pk_fma_f16 v15, v73, v111, v15
	v_pk_fma_f16 v16, v73, v18, v16
	v_pk_fma_f16 v17, v74, v111, v56
	v_pk_fma_f16 v27, v74, v18, v57
	v_pk_fma_f16 v56, v75, v111, v58
	v_pk_fma_f16 v57, v75, v18, v59
	v_pk_fma_f16 v55, v76, v111, v55
	v_pk_fma_f16 v24, v76, v18, v24
	v_pk_fma_f16 v58, v77, v111, v60
	v_pk_fma_f16 v25, v77, v18, v25
	v_pk_fma_f16 v28, v78, v111, v28
	v_pk_fma_f16 v26, v78, v18, v26
	v_pk_fma_f16 v11, v79, v111, v11
	v_pk_fma_f16 v12, v79, v18, v12
	v_mul_u32_u24_sdwa v114, v53, v48 dst_sel:DWORD dst_unused:UNUSED_PAD src0_sel:WORD_0 src1_sel:DWORD
	v_mul_u32_u24_sdwa v53, v53, v48 dst_sel:DWORD dst_unused:UNUSED_PAD src0_sel:WORD_1 src1_sel:DWORD
	v_pk_fma_f16 v8, v80, v113, v8
	v_pk_fma_f16 v9, v80, v52, v9
	v_pk_fma_f16 v15, v81, v113, v15
	v_pk_fma_f16 v16, v81, v52, v16
	v_pk_fma_f16 v17, v82, v113, v17
	v_pk_fma_f16 v18, v82, v52, v27
	v_pk_fma_f16 v27, v83, v113, v56
	v_pk_fma_f16 v56, v83, v52, v57
	v_pk_fma_f16 v55, v84, v113, v55
	v_pk_fma_f16 v24, v84, v52, v24
	v_pk_fma_f16 v57, v85, v113, v58
	v_pk_fma_f16 v25, v85, v52, v25
	v_pk_fma_f16 v28, v86, v113, v28
	v_pk_fma_f16 v26, v86, v52, v26
	v_pk_fma_f16 v11, v87, v113, v11
	v_pk_fma_f16 v12, v87, v52, v12
	;; [unrolled: 18-line block ×3, first 2 shown]
	v_pk_fma_f16 v8, v96, v109, v8
	v_pk_fma_f16 v9, v96, v54, v9
	;; [unrolled: 1-line block ×16, first 2 shown]
	s_waitcnt lgkmcnt(0)
	s_lshl_b32 s0, s0, 6
	v_pk_fma_f16 v62, v19, v116, v8
	v_pk_fma_f16 v55, v19, v117, v9
	v_pk_fma_f16 v67, v20, v116, v15
	v_pk_fma_f16 v59, v20, v117, v16
	v_pk_fma_f16 v65, v21, v116, v17
	v_pk_fma_f16 v57, v21, v117, v18
	v_pk_fma_f16 v66, v22, v116, v27
	v_pk_fma_f16 v58, v22, v117, v52
	v_pk_fma_f16 v64, v104, v116, v53
	v_pk_fma_f16 v54, v104, v117, v24
	v_pk_fma_f16 v63, v105, v116, v56
	v_pk_fma_f16 v56, v105, v117, v25
	v_pk_fma_f16 v60, v106, v116, v28
	v_pk_fma_f16 v53, v106, v117, v26
	v_pk_fma_f16 v61, v107, v116, v11
	v_pk_fma_f16 v52, v107, v117, v12
	s_add_i32 s24, s0, s24
	s_cmp_ge_i32 s24, s30
	s_cbranch_scc0 .LBB13_13
; %bb.14:
	v_mov_b32_e32 v3, 32
	v_mov_b32_e32 v4, v32
.LBB13_15:
	v_cmp_lt_i32_e32 vcc_lo, v37, v3
	s_cmp_lg_u64 s[16:17], 0
	s_cselect_b32 s0, -1, 0
	s_cmp_eq_u32 s28, 0
	v_cndmask_b32_e32 v1, v4, v37, vcc_lo
	v_cmp_lt_i32_e32 vcc_lo, v36, v3
	s_cselect_b32 s1, -1, 0
	s_and_b32 s0, s1, s0
	v_lshlrev_b32_e32 v1, 2, v1
	v_cndmask_b32_e32 v6, v4, v36, vcc_lo
	v_cmp_lt_i32_e32 vcc_lo, v35, v3
	ds_bpermute_b32 v5, v1, v23
	ds_bpermute_b32 v1, v1, v10
	v_lshlrev_b32_e32 v6, 2, v6
	v_cndmask_b32_e32 v8, v4, v35, vcc_lo
	v_cmp_lt_i32_e32 vcc_lo, v34, v3
	v_lshlrev_b32_e32 v8, 2, v8
	s_waitcnt lgkmcnt(1)
	v_add_f32_e32 v5, v23, v5
	s_waitcnt lgkmcnt(0)
	v_add_f32_e32 v1, v10, v1
	ds_bpermute_b32 v7, v6, v5
	ds_bpermute_b32 v6, v6, v1
	s_waitcnt lgkmcnt(1)
	v_add_f32_e32 v5, v5, v7
	s_waitcnt lgkmcnt(0)
	v_add_f32_e32 v1, v1, v6
	ds_bpermute_b32 v6, v8, v5
	ds_bpermute_b32 v7, v8, v1
	v_cndmask_b32_e32 v8, v4, v34, vcc_lo
	v_cmp_lt_i32_e32 vcc_lo, v33, v3
	v_lshlrev_b32_e32 v8, 2, v8
	v_cndmask_b32_e32 v3, v4, v33, vcc_lo
	s_and_b32 vcc_lo, exec_lo, s0
	v_lshlrev_b32_e32 v3, 2, v3
	s_waitcnt lgkmcnt(1)
	v_add_f32_e32 v5, v5, v6
	s_waitcnt lgkmcnt(0)
	v_add_f32_e32 v1, v1, v7
	ds_bpermute_b32 v6, v8, v5
	ds_bpermute_b32 v7, v8, v1
	s_waitcnt lgkmcnt(1)
	v_add_f32_e32 v4, v5, v6
	s_waitcnt lgkmcnt(0)
	v_add_f32_e32 v1, v1, v7
	ds_bpermute_b32 v5, v3, v4
	ds_bpermute_b32 v3, v3, v1
	s_waitcnt lgkmcnt(1)
	v_add_f32_e32 v5, v4, v5
	s_waitcnt lgkmcnt(0)
	v_add_f32_e32 v6, v1, v3
	s_cbranch_vccz .LBB13_18
; %bb.16:
	v_add_nc_u32_e32 v3, s29, v29
	v_max_f32_e32 v1, v13, v13
	v_max_f32_e32 v8, v14, v14
	v_ashrrev_i32_e32 v4, 31, v3
	v_lshlrev_b64 v[3:4], 2, v[3:4]
	v_add_co_u32 v3, vcc_lo, s16, v3
	v_add_co_ci_u32_e64 v4, null, s17, v4, vcc_lo
	global_load_dwordx2 v[3:4], v[3:4], off
	s_waitcnt vmcnt(0)
	v_max_f32_e32 v7, v3, v3
	v_max_f32_e32 v9, v4, v4
	;; [unrolled: 1-line block ×4, first 2 shown]
	v_sub_f32_e32 v1, v13, v7
	v_sub_f32_e32 v3, v3, v7
	;; [unrolled: 1-line block ×4, first 2 shown]
	v_mul_f32_e32 v10, 0x3fb8aa3b, v1
	v_mul_f32_e32 v11, 0x3fb8aa3b, v3
	;; [unrolled: 1-line block ×4, first 2 shown]
	v_cmp_ngt_f32_e32 vcc_lo, 0xc2ce8ed0, v1
	v_fma_f32 v14, 0x3fb8aa3b, v1, -v10
	v_rndne_f32_e32 v15, v10
	v_fma_f32 v16, 0x3fb8aa3b, v3, -v11
	v_rndne_f32_e32 v17, v11
	v_fma_f32 v18, 0x3fb8aa3b, v9, -v12
	v_fmac_f32_e32 v14, 0x32a5705f, v1
	v_sub_f32_e32 v10, v10, v15
	v_rndne_f32_e32 v19, v12
	v_fmac_f32_e32 v16, 0x32a5705f, v3
	v_sub_f32_e32 v11, v11, v17
	v_fma_f32 v20, 0x3fb8aa3b, v4, -v13
	v_add_f32_e32 v10, v10, v14
	v_rndne_f32_e32 v21, v13
	v_fmac_f32_e32 v18, 0x32a5705f, v9
	v_sub_f32_e32 v12, v12, v19
	v_add_f32_e32 v11, v11, v16
	v_exp_f32_e32 v10, v10
	v_fmac_f32_e32 v20, 0x32a5705f, v4
	v_sub_f32_e32 v13, v13, v21
	v_add_f32_e32 v12, v12, v18
	v_exp_f32_e32 v11, v11
	v_cvt_i32_f32_e32 v14, v15
	v_cvt_i32_f32_e32 v15, v17
	v_add_f32_e32 v13, v13, v20
	v_exp_f32_e32 v12, v12
	v_cvt_i32_f32_e32 v16, v19
	v_ldexp_f32 v10, v10, v14
	v_cvt_i32_f32_e32 v17, v21
	v_exp_f32_e32 v13, v13
	v_mov_b32_e32 v18, 0x10001
	v_ldexp_f32 v11, v11, v15
	v_cndmask_b32_e32 v10, 0, v10, vcc_lo
	v_cmp_ngt_f32_e32 vcc_lo, 0xc2ce8ed0, v3
	v_ldexp_f32 v12, v12, v16
	v_cndmask_b32_e32 v11, 0, v11, vcc_lo
	v_cmp_ngt_f32_e32 vcc_lo, 0xc2ce8ed0, v9
	;; [unrolled: 3-line block ×3, first 2 shown]
	v_cndmask_b32_e32 v13, 0, v13, vcc_lo
	v_cmp_nlt_f32_e32 vcc_lo, 0x42b17218, v1
	v_cndmask_b32_e32 v1, 0x7f800000, v10, vcc_lo
	v_cmp_nlt_f32_e32 vcc_lo, 0x42b17218, v9
	v_cvt_f16_f32_e32 v10, v1
	v_cndmask_b32_e32 v9, 0x7f800000, v12, vcc_lo
	v_cmp_nlt_f32_e32 vcc_lo, 0x42b17218, v3
	v_cndmask_b32_e32 v3, 0x7f800000, v11, vcc_lo
	v_cmp_nlt_f32_e32 vcc_lo, 0x42b17218, v4
	v_cvt_f16_f32_e32 v11, v9
	v_fmac_f32_e32 v3, v5, v1
	v_cndmask_b32_e32 v4, 0x7f800000, v13, vcc_lo
	v_mul_u32_u24_sdwa v1, v10, v18 dst_sel:DWORD dst_unused:UNUSED_PAD src0_sel:WORD_0 src1_sel:DWORD
	v_mov_b32_e32 v14, v8
	v_mov_b32_e32 v13, v7
	v_mov_b32_e32 v5, v3
	v_fmac_f32_e32 v4, v6, v9
	v_mul_u32_u24_sdwa v6, v11, v18 dst_sel:DWORD dst_unused:UNUSED_PAD src0_sel:WORD_0 src1_sel:DWORD
	v_pk_mul_f16 v62, v62, v1
	v_pk_mul_f16 v67, v67, v1
	;; [unrolled: 1-line block ×16, first 2 shown]
	v_mov_b32_e32 v6, v4
	s_mov_b32 s0, exec_lo
	v_cmpx_gt_i32_e64 s26, v2
	s_cbranch_execnz .LBB13_19
.LBB13_17:
	s_endpgm
.LBB13_18:
	v_mov_b32_e32 v3, v5
	v_mov_b32_e32 v4, v6
	s_mov_b32 s0, exec_lo
	v_cmpx_gt_i32_e64 s26, v2
	s_cbranch_execz .LBB13_17
.LBB13_19:
	s_load_dword s1, s[4:5], 0xd4
	v_mov_b32_e32 v7, 1.0
	s_waitcnt lgkmcnt(0)
	s_cmp_lg_u32 s1, 1
	s_cselect_b32 s3, -1, 0
	s_cmp_eq_u32 s1, 1
	s_cselect_b32 s2, -1, 0
	s_and_b32 vcc_lo, exec_lo, s3
	s_cbranch_vccnz .LBB13_21
; %bb.20:
	v_div_scale_f32 v1, null, v5, v5, 1.0
	v_rcp_f32_e32 v7, v1
	v_fma_f32 v8, -v1, v7, 1.0
	v_fmac_f32_e32 v7, v8, v7
	v_div_scale_f32 v8, vcc_lo, 1.0, v5, 1.0
	v_mul_f32_e32 v9, v8, v7
	v_fma_f32 v10, -v1, v9, v8
	v_fmac_f32_e32 v9, v10, v7
	v_fma_f32 v1, -v1, v9, v8
	v_div_fmas_f32 v1, v1, v7, v9
	v_div_fixup_f32 v7, v1, v5, 1.0
.LBB13_21:
	v_mad_u64_u32 v[1:2], null, s33, s26, v[2:3]
	v_cmp_eq_u32_e32 vcc_lo, 0, v0
	v_mov_b32_e32 v2, 0
	v_cvt_f32_f16_sdwa v15, v66 dst_sel:DWORD dst_unused:UNUSED_PAD src0_sel:WORD_1
	v_cvt_f32_f16_e32 v16, v66
	v_cvt_f32_f16_sdwa v19, v65 dst_sel:DWORD dst_unused:UNUSED_PAD src0_sel:WORD_1
	v_cvt_f32_f16_e32 v20, v65
	v_mul_lo_u32 v0, v1, s27
	v_mul_f32_e32 v18, v7, v15
	v_mul_f32_e32 v17, v7, v16
	;; [unrolled: 1-line block ×4, first 2 shown]
	v_mov_b32_e32 v20, v2
	v_mov_b32_e32 v24, v2
	v_cvt_f32_f16_sdwa v21, v63 dst_sel:DWORD dst_unused:UNUSED_PAD src0_sel:WORD_1
	v_add3_u32 v0, s29, v29, v0
	v_cvt_f32_f16_e32 v27, v63
	v_cvt_f32_f16_sdwa v5, v67 dst_sel:DWORD dst_unused:UNUSED_PAD src0_sel:WORD_1
	v_cvt_f32_f16_e32 v8, v67
	v_cvt_f32_f16_e32 v12, v62
	v_mad_u64_u32 v[0:1], null, s1, v0, s[28:29]
	v_cvt_f32_f16_sdwa v29, v64 dst_sel:DWORD dst_unused:UNUSED_PAD src0_sel:WORD_1
	v_cvt_f32_f16_e32 v33, v64
	v_mul_f32_e32 v22, v7, v21
	v_mul_f32_e32 v21, v7, v27
	v_cvt_f32_f16_sdwa v9, v62 dst_sel:DWORD dst_unused:UNUSED_PAD src0_sel:WORD_1
	v_mul_f32_e32 v11, v7, v5
	v_lshl_add_u32 v1, v0, 9, v30
	v_mul_f32_e32 v10, v7, v8
	v_mul_f32_e32 v8, v7, v12
	v_cvt_f32_f16_sdwa v5, v61 dst_sel:DWORD dst_unused:UNUSED_PAD src0_sel:WORD_1
	v_cvt_f32_f16_e32 v12, v61
	v_add_nc_u32_e32 v19, 0x80, v1
	v_add_nc_u32_e32 v23, 0x100, v1
	v_lshlrev_b64 v[25:26], 2, v[1:2]
	v_add_nc_u32_e32 v1, 0x180, v1
	v_mul_f32_e32 v9, v7, v9
	v_lshlrev_b64 v[19:20], 2, v[19:20]
	v_lshlrev_b64 v[23:24], 2, v[23:24]
	v_add_co_u32 v27, s0, s20, v25
	v_lshlrev_b64 v[1:2], 2, v[1:2]
	v_add_co_ci_u32_e64 v28, null, s21, v26, s0
	v_add_co_u32 v31, s0, s20, v19
	v_add_co_ci_u32_e64 v32, null, s21, v20, s0
	v_mul_f32_e32 v20, v7, v29
	v_mul_f32_e32 v19, v7, v33
	v_add_co_u32 v33, s0, s20, v23
	v_cvt_f32_f16_sdwa v23, v60 dst_sel:DWORD dst_unused:UNUSED_PAD src0_sel:WORD_1
	v_cvt_f32_f16_e32 v29, v60
	v_add_co_ci_u32_e64 v34, null, s21, v24, s0
	v_add_co_u32 v1, s0, s20, v1
	v_mul_f32_e32 v26, v7, v5
	v_mul_f32_e32 v25, v7, v12
	;; [unrolled: 1-line block ×4, first 2 shown]
	v_add_co_ci_u32_e64 v2, null, s21, v2, s0
	s_and_b32 s0, vcc_lo, s3
	global_store_dwordx4 v[27:28], v[8:11], off
	global_store_dwordx4 v[31:32], v[15:18], off
	;; [unrolled: 1-line block ×4, first 2 shown]
	s_and_saveexec_b32 s3, s0
	s_cbranch_execz .LBB13_23
; %bb.22:
	v_ashrrev_i32_e32 v1, 31, v0
	v_mov_b32_e32 v7, v13
	v_mov_b32_e32 v8, v3
	v_lshlrev_b64 v[1:2], 3, v[0:1]
	v_add_co_u32 v1, vcc_lo, s22, v1
	v_add_co_ci_u32_e64 v2, null, s23, v2, vcc_lo
	global_store_dwordx2 v[1:2], v[7:8], off
.LBB13_23:
	s_or_b32 exec_lo, exec_lo, s3
	v_mov_b32_e32 v1, 1.0
	s_andn2_b32 vcc_lo, exec_lo, s2
	s_cbranch_vccnz .LBB13_25
; %bb.24:
	v_div_scale_f32 v1, null, v6, v6, 1.0
	v_rcp_f32_e32 v2, v1
	v_fma_f32 v3, -v1, v2, 1.0
	v_fmac_f32_e32 v2, v3, v2
	v_div_scale_f32 v3, vcc_lo, 1.0, v6, 1.0
	v_mul_f32_e32 v5, v3, v2
	v_fma_f32 v7, -v1, v5, v3
	v_fmac_f32_e32 v5, v7, v2
	v_fma_f32 v1, -v1, v5, v3
	v_div_fmas_f32 v1, v1, v2, v5
	v_div_fixup_f32 v1, v1, v6, 1.0
.LBB13_25:
	v_add_nc_u32_e32 v0, s1, v0
	v_cvt_f32_f16_sdwa v5, v59 dst_sel:DWORD dst_unused:UNUSED_PAD src0_sel:WORD_1
	v_mov_b32_e32 v3, 0
	v_cvt_f32_f16_e32 v6, v59
	v_cvt_f32_f16_sdwa v11, v55 dst_sel:DWORD dst_unused:UNUSED_PAD src0_sel:WORD_1
	v_lshl_add_u32 v2, v0, 9, v30
	v_cvt_f32_f16_e32 v12, v55
	v_mul_f32_e32 v8, v1, v5
	v_mul_f32_e32 v7, v1, v6
	;; [unrolled: 1-line block ×3, first 2 shown]
	v_add_nc_u32_e32 v11, 0x80, v2
	v_mul_f32_e32 v5, v1, v12
	v_mov_b32_e32 v12, v3
	v_lshlrev_b64 v[9:10], 2, v[2:3]
	v_cvt_f32_f16_sdwa v13, v57 dst_sel:DWORD dst_unused:UNUSED_PAD src0_sel:WORD_1
	v_cvt_f32_f16_e32 v17, v57
	v_cvt_f32_f16_sdwa v21, v54 dst_sel:DWORD dst_unused:UNUSED_PAD src0_sel:WORD_1
	v_lshlrev_b64 v[15:16], 2, v[11:12]
	v_cvt_f32_f16_e32 v22, v54
	v_add_co_u32 v23, vcc_lo, s20, v9
	v_add_co_ci_u32_e64 v24, null, s21, v10, vcc_lo
	v_add_co_u32 v25, vcc_lo, s20, v15
	v_add_co_ci_u32_e64 v26, null, s21, v16, vcc_lo
	v_add_nc_u32_e32 v15, 0x100, v2
	v_mov_b32_e32 v16, v3
	v_cvt_f32_f16_e32 v10, v58
	v_add_nc_u32_e32 v2, 0x180, v2
	v_cvt_f32_f16_sdwa v9, v58 dst_sel:DWORD dst_unused:UNUSED_PAD src0_sel:WORD_1
	v_cvt_f32_f16_e32 v29, v53
	v_lshlrev_b64 v[19:20], 2, v[15:16]
	v_mul_f32_e32 v11, v1, v10
	v_mul_f32_e32 v10, v1, v13
	v_cvt_f32_f16_sdwa v13, v56 dst_sel:DWORD dst_unused:UNUSED_PAD src0_sel:WORD_1
	v_lshlrev_b64 v[2:3], 2, v[2:3]
	v_mul_f32_e32 v12, v1, v9
	v_add_co_u32 v27, vcc_lo, s20, v19
	v_mul_f32_e32 v9, v1, v17
	v_cvt_f32_f16_e32 v17, v56
	v_mul_f32_e32 v18, v1, v13
	v_add_co_ci_u32_e64 v28, null, s21, v20, vcc_lo
	v_cvt_f32_f16_sdwa v13, v52 dst_sel:DWORD dst_unused:UNUSED_PAD src0_sel:WORD_1
	v_cvt_f32_f16_e32 v19, v52
	v_cvt_f32_f16_sdwa v20, v53 dst_sel:DWORD dst_unused:UNUSED_PAD src0_sel:WORD_1
	v_mul_f32_e32 v17, v1, v17
	v_mul_f32_e32 v16, v1, v21
	;; [unrolled: 1-line block ×7, first 2 shown]
	v_add_co_u32 v1, vcc_lo, s20, v2
	v_add_co_ci_u32_e64 v2, null, s21, v3, vcc_lo
	global_store_dwordx4 v[23:24], v[5:8], off
	global_store_dwordx4 v[25:26], v[9:12], off
	;; [unrolled: 1-line block ×4, first 2 shown]
	s_and_b32 exec_lo, exec_lo, s0
	s_cbranch_execz .LBB13_17
; %bb.26:
	v_ashrrev_i32_e32 v1, 31, v0
	v_mov_b32_e32 v3, v14
	v_lshlrev_b64 v[0:1], 3, v[0:1]
	v_add_co_u32 v0, vcc_lo, s22, v0
	v_add_co_ci_u32_e64 v1, null, s23, v1, vcc_lo
	global_store_dwordx2 v[0:1], v[3:4], off
	s_endpgm
	.section	.rodata,"a",@progbits
	.p2align	6, 0x0
	.amdhsa_kernel _ZL15flash_attn_tileILi576ELi512ELi4ELi4ELb0EEvPKcS1_S1_S1_S1_PKiPfP15HIP_vector_typeIfLj2EEffffjfiS5_IjLj3EEiiiiiiiiiiiliiliiiiil
		.amdhsa_group_segment_fixed_size 29696
		.amdhsa_private_segment_fixed_size 0
		.amdhsa_kernarg_size 464
		.amdhsa_user_sgpr_count 6
		.amdhsa_user_sgpr_private_segment_buffer 1
		.amdhsa_user_sgpr_dispatch_ptr 0
		.amdhsa_user_sgpr_queue_ptr 0
		.amdhsa_user_sgpr_kernarg_segment_ptr 1
		.amdhsa_user_sgpr_dispatch_id 0
		.amdhsa_user_sgpr_flat_scratch_init 0
		.amdhsa_user_sgpr_private_segment_size 0
		.amdhsa_wavefront_size32 1
		.amdhsa_uses_dynamic_stack 0
		.amdhsa_system_sgpr_private_segment_wavefront_offset 0
		.amdhsa_system_sgpr_workgroup_id_x 1
		.amdhsa_system_sgpr_workgroup_id_y 1
		.amdhsa_system_sgpr_workgroup_id_z 1
		.amdhsa_system_sgpr_workgroup_info 0
		.amdhsa_system_vgpr_workitem_id 1
		.amdhsa_next_free_vgpr 125
		.amdhsa_next_free_sgpr 48
		.amdhsa_reserve_vcc 1
		.amdhsa_reserve_flat_scratch 0
		.amdhsa_float_round_mode_32 0
		.amdhsa_float_round_mode_16_64 0
		.amdhsa_float_denorm_mode_32 3
		.amdhsa_float_denorm_mode_16_64 3
		.amdhsa_dx10_clamp 1
		.amdhsa_ieee_mode 1
		.amdhsa_fp16_overflow 0
		.amdhsa_workgroup_processor_mode 1
		.amdhsa_memory_ordered 1
		.amdhsa_forward_progress 1
		.amdhsa_shared_vgpr_count 0
		.amdhsa_exception_fp_ieee_invalid_op 0
		.amdhsa_exception_fp_denorm_src 0
		.amdhsa_exception_fp_ieee_div_zero 0
		.amdhsa_exception_fp_ieee_overflow 0
		.amdhsa_exception_fp_ieee_underflow 0
		.amdhsa_exception_fp_ieee_inexact 0
		.amdhsa_exception_int_div_zero 0
	.end_amdhsa_kernel
	.section	.text._ZL15flash_attn_tileILi576ELi512ELi4ELi4ELb0EEvPKcS1_S1_S1_S1_PKiPfP15HIP_vector_typeIfLj2EEffffjfiS5_IjLj3EEiiiiiiiiiiiliiliiiiil,"axG",@progbits,_ZL15flash_attn_tileILi576ELi512ELi4ELi4ELb0EEvPKcS1_S1_S1_S1_PKiPfP15HIP_vector_typeIfLj2EEffffjfiS5_IjLj3EEiiiiiiiiiiiliiliiiiil,comdat
.Lfunc_end13:
	.size	_ZL15flash_attn_tileILi576ELi512ELi4ELi4ELb0EEvPKcS1_S1_S1_S1_PKiPfP15HIP_vector_typeIfLj2EEffffjfiS5_IjLj3EEiiiiiiiiiiiliiliiiiil, .Lfunc_end13-_ZL15flash_attn_tileILi576ELi512ELi4ELi4ELb0EEvPKcS1_S1_S1_S1_PKiPfP15HIP_vector_typeIfLj2EEffffjfiS5_IjLj3EEiiiiiiiiiiiliiliiiiil
                                        ; -- End function
	.set _ZL15flash_attn_tileILi576ELi512ELi4ELi4ELb0EEvPKcS1_S1_S1_S1_PKiPfP15HIP_vector_typeIfLj2EEffffjfiS5_IjLj3EEiiiiiiiiiiiliiliiiiil.num_vgpr, 125
	.set _ZL15flash_attn_tileILi576ELi512ELi4ELi4ELb0EEvPKcS1_S1_S1_S1_PKiPfP15HIP_vector_typeIfLj2EEffffjfiS5_IjLj3EEiiiiiiiiiiiliiliiiiil.num_agpr, 0
	.set _ZL15flash_attn_tileILi576ELi512ELi4ELi4ELb0EEvPKcS1_S1_S1_S1_PKiPfP15HIP_vector_typeIfLj2EEffffjfiS5_IjLj3EEiiiiiiiiiiiliiliiiiil.numbered_sgpr, 48
	.set _ZL15flash_attn_tileILi576ELi512ELi4ELi4ELb0EEvPKcS1_S1_S1_S1_PKiPfP15HIP_vector_typeIfLj2EEffffjfiS5_IjLj3EEiiiiiiiiiiiliiliiiiil.num_named_barrier, 0
	.set _ZL15flash_attn_tileILi576ELi512ELi4ELi4ELb0EEvPKcS1_S1_S1_S1_PKiPfP15HIP_vector_typeIfLj2EEffffjfiS5_IjLj3EEiiiiiiiiiiiliiliiiiil.private_seg_size, 0
	.set _ZL15flash_attn_tileILi576ELi512ELi4ELi4ELb0EEvPKcS1_S1_S1_S1_PKiPfP15HIP_vector_typeIfLj2EEffffjfiS5_IjLj3EEiiiiiiiiiiiliiliiiiil.uses_vcc, 1
	.set _ZL15flash_attn_tileILi576ELi512ELi4ELi4ELb0EEvPKcS1_S1_S1_S1_PKiPfP15HIP_vector_typeIfLj2EEffffjfiS5_IjLj3EEiiiiiiiiiiiliiliiiiil.uses_flat_scratch, 0
	.set _ZL15flash_attn_tileILi576ELi512ELi4ELi4ELb0EEvPKcS1_S1_S1_S1_PKiPfP15HIP_vector_typeIfLj2EEffffjfiS5_IjLj3EEiiiiiiiiiiiliiliiiiil.has_dyn_sized_stack, 0
	.set _ZL15flash_attn_tileILi576ELi512ELi4ELi4ELb0EEvPKcS1_S1_S1_S1_PKiPfP15HIP_vector_typeIfLj2EEffffjfiS5_IjLj3EEiiiiiiiiiiiliiliiiiil.has_recursion, 0
	.set _ZL15flash_attn_tileILi576ELi512ELi4ELi4ELb0EEvPKcS1_S1_S1_S1_PKiPfP15HIP_vector_typeIfLj2EEffffjfiS5_IjLj3EEiiiiiiiiiiiliiliiiiil.has_indirect_call, 0
	.section	.AMDGPU.csdata,"",@progbits
; Kernel info:
; codeLenInByte = 44168
; TotalNumSgprs: 50
; NumVgprs: 125
; ScratchSize: 0
; MemoryBound: 0
; FloatMode: 240
; IeeeMode: 1
; LDSByteSize: 29696 bytes/workgroup (compile time only)
; SGPRBlocks: 0
; VGPRBlocks: 15
; NumSGPRsForWavesPerEU: 50
; NumVGPRsForWavesPerEU: 125
; Occupancy: 8
; WaveLimiterHint : 1
; COMPUTE_PGM_RSRC2:SCRATCH_EN: 0
; COMPUTE_PGM_RSRC2:USER_SGPR: 6
; COMPUTE_PGM_RSRC2:TRAP_HANDLER: 0
; COMPUTE_PGM_RSRC2:TGID_X_EN: 1
; COMPUTE_PGM_RSRC2:TGID_Y_EN: 1
; COMPUTE_PGM_RSRC2:TGID_Z_EN: 1
; COMPUTE_PGM_RSRC2:TIDIG_COMP_CNT: 1
	.section	.text._ZL25flash_attn_mask_to_KV_maxILi4EEvPK7__half2Piiii,"axG",@progbits,_ZL25flash_attn_mask_to_KV_maxILi4EEvPK7__half2Piiii,comdat
	.globl	_ZL25flash_attn_mask_to_KV_maxILi4EEvPK7__half2Piiii ; -- Begin function _ZL25flash_attn_mask_to_KV_maxILi4EEvPK7__half2Piiii
	.p2align	8
	.type	_ZL25flash_attn_mask_to_KV_maxILi4EEvPK7__half2Piiii,@function
_ZL25flash_attn_mask_to_KV_maxILi4EEvPK7__half2Piiii: ; @_ZL25flash_attn_mask_to_KV_maxILi4EEvPK7__half2Piiii
; %bb.0:
	s_load_dwordx4 s[8:11], s[4:5], 0x0
	s_mov_b32 s0, exec_lo
	v_cmpx_gt_u32_e32 32, v0
; %bb.1:
	v_lshlrev_b32_e32 v1, 2, v0
	v_mov_b32_e32 v2, 1
	ds_write_b32 v1, v2
; %bb.2:
	s_or_b32 exec_lo, exec_lo, s0
	s_clause 0x1
	s_load_dwordx4 s[12:15], s[4:5], 0x10
	s_load_dword s1, s[4:5], 0x20
	v_and_b32_e32 v1, 31, v0
	v_lshrrev_b32_e32 v5, 3, v0
	v_mov_b32_e32 v2, 0
	v_mov_b32_e32 v6, 0x204
	s_waitcnt lgkmcnt(0)
	v_lshlrev_b32_e32 v7, 2, v1
	s_barrier
	buffer_gl0_inv
	s_mul_i32 s0, s6, s13
	s_mul_i32 s2, s14, s7
	s_lshl_b32 s0, s0, 2
	s_add_i32 s2, s2, s0
	v_cmp_eq_u32_e64 s0, 0, v1
	s_ashr_i32 s3, s2, 31
	s_lshl_b64 s[4:5], s[2:3], 2
	s_add_u32 s3, s8, s4
	s_addc_u32 s4, s9, s5
	s_lshl_b32 s5, s12, 8
	s_branch .LBB14_4
.LBB14_3:                               ;   in Loop: Header=BB14_4 Depth=1
	s_or_b32 exec_lo, exec_lo, s8
	s_waitcnt lgkmcnt(0)
	s_barrier
	buffer_gl0_inv
	ds_read_b32 v1, v7
	s_waitcnt lgkmcnt(0)
	s_barrier
	buffer_gl0_inv
	v_cmp_ne_u32_e32 vcc_lo, 0, v1
	s_cmp_lg_u32 vcc_lo, exec_lo
	s_cselect_b32 s8, -1, 0
	s_and_b32 vcc_lo, exec_lo, s8
	s_cbranch_vccnz .LBB14_20
.LBB14_4:                               ; =>This Inner Loop Header: Depth=1
	s_mov_b32 s2, s5
	s_addk_i32 s5, 0xff00
	s_cmp_lt_i32 s5, 0
	s_cbranch_scc1 .LBB14_19
; %bb.5:                                ;   in Loop: Header=BB14_4 Depth=1
	s_lshr_b32 s8, s5, 1
	v_add_nc_u32_e32 v1, s8, v0
	v_lshlrev_b64 v[3:4], 2, v[1:2]
	v_add_co_u32 v3, vcc_lo, s3, v3
	v_add_co_ci_u32_e64 v4, null, s4, v4, vcc_lo
	global_load_dword v3, v[3:4], off
	s_waitcnt vmcnt(0)
	v_cmp_class_f16_e64 s8, v3, 0x204
	v_cmp_class_f16_sdwa s9, v3, v6 src0_sel:WORD_1 src1_sel:DWORD
	s_and_b32 s12, s8, s9
	s_mov_b32 s9, 0
	s_and_saveexec_b32 s8, s12
	s_cbranch_execz .LBB14_17
; %bb.6:                                ;   in Loop: Header=BB14_4 Depth=1
	v_add_nc_u32_e32 v3, s13, v1
	s_mov_b32 s12, 0
	v_ashrrev_i32_e32 v4, 31, v3
	v_lshlrev_b64 v[8:9], 2, v[3:4]
	v_add_co_u32 v8, vcc_lo, s3, v8
	v_add_co_ci_u32_e64 v9, null, s4, v9, vcc_lo
	global_load_dword v1, v[8:9], off
	s_waitcnt vmcnt(0)
	v_cmp_class_f16_e64 s14, v1, 0x204
	s_and_saveexec_b32 s9, s14
	s_cbranch_execz .LBB14_16
; %bb.7:                                ;   in Loop: Header=BB14_4 Depth=1
	v_cmp_class_f16_sdwa s15, v1, v6 src0_sel:WORD_1 src1_sel:DWORD
	s_mov_b32 s14, 0
	s_and_saveexec_b32 s12, s15
	s_cbranch_execz .LBB14_15
; %bb.8:                                ;   in Loop: Header=BB14_4 Depth=1
	v_add_nc_u32_e32 v3, s13, v3
	s_mov_b32 s15, 0
	v_ashrrev_i32_e32 v4, 31, v3
	v_lshlrev_b64 v[8:9], 2, v[3:4]
	v_add_co_u32 v8, vcc_lo, s3, v8
	v_add_co_ci_u32_e64 v9, null, s4, v9, vcc_lo
	global_load_dword v1, v[8:9], off
	s_waitcnt vmcnt(0)
	v_cmp_class_f16_e64 s16, v1, 0x204
	s_and_saveexec_b32 s14, s16
	s_cbranch_execz .LBB14_14
; %bb.9:                                ;   in Loop: Header=BB14_4 Depth=1
	v_cmp_class_f16_sdwa s17, v1, v6 src0_sel:WORD_1 src1_sel:DWORD
	s_mov_b32 s16, 0
	s_and_saveexec_b32 s15, s17
	s_cbranch_execz .LBB14_13
; %bb.10:                               ;   in Loop: Header=BB14_4 Depth=1
	v_add_nc_u32_e32 v3, s13, v3
	v_ashrrev_i32_e32 v4, 31, v3
	v_lshlrev_b64 v[3:4], 2, v[3:4]
	v_add_co_u32 v3, vcc_lo, s3, v3
	v_add_co_ci_u32_e64 v4, null, s4, v4, vcc_lo
	global_load_dword v1, v[3:4], off
	s_waitcnt vmcnt(0)
	v_cmp_class_f16_e64 s18, v1, 0x204
	s_and_saveexec_b32 s17, s18
; %bb.11:                               ;   in Loop: Header=BB14_4 Depth=1
	v_cmp_class_f16_sdwa s16, v1, v6 src0_sel:WORD_1 src1_sel:DWORD
	s_and_b32 s16, s16, exec_lo
; %bb.12:                               ;   in Loop: Header=BB14_4 Depth=1
	s_or_b32 exec_lo, exec_lo, s17
	s_and_b32 s16, s16, exec_lo
.LBB14_13:                              ;   in Loop: Header=BB14_4 Depth=1
	s_or_b32 exec_lo, exec_lo, s15
	s_and_b32 s15, s16, exec_lo
.LBB14_14:                              ;   in Loop: Header=BB14_4 Depth=1
	s_or_b32 exec_lo, exec_lo, s14
	s_and_b32 s14, s15, exec_lo
.LBB14_15:                              ;   in Loop: Header=BB14_4 Depth=1
	s_or_b32 exec_lo, exec_lo, s12
	s_and_b32 s12, s14, exec_lo
.LBB14_16:                              ;   in Loop: Header=BB14_4 Depth=1
	s_or_b32 exec_lo, exec_lo, s9
	s_and_b32 s9, s12, exec_lo
.LBB14_17:                              ;   in Loop: Header=BB14_4 Depth=1
	s_or_b32 exec_lo, exec_lo, s8
	v_cndmask_b32_e64 v1, 0, 1, s9
	s_mov_b32 s12, exec_lo
	v_cmp_ne_u32_e32 vcc_lo, 0, v1
	s_and_saveexec_b32 s8, s0
	s_cbranch_execz .LBB14_3
; %bb.18:                               ;   in Loop: Header=BB14_4 Depth=1
	s_cmp_eq_u32 vcc_lo, s12
	s_cselect_b32 s9, -1, 0
	v_cndmask_b32_e64 v1, 0, 1, s9
	ds_write_b32 v5, v1
	s_branch .LBB14_3
.LBB14_19:                              ;   in Loop: Header=BB14_4 Depth=1
	s_cbranch_execz .LBB14_4
.LBB14_20:
	s_mov_b32 s0, exec_lo
	v_cmpx_eq_u32_e32 0, v0
	s_cbranch_execz .LBB14_22
; %bb.21:
	s_mul_i32 s0, s1, s7
	v_mov_b32_e32 v0, 0
	s_add_i32 s0, s0, s6
	v_mov_b32_e32 v1, s2
	s_ashr_i32 s1, s0, 31
	s_lshl_b64 s[0:1], s[0:1], 2
	s_add_u32 s0, s10, s0
	s_addc_u32 s1, s11, s1
	global_store_dword v0, v1, s[0:1]
.LBB14_22:
	s_endpgm
	.section	.rodata,"a",@progbits
	.p2align	6, 0x0
	.amdhsa_kernel _ZL25flash_attn_mask_to_KV_maxILi4EEvPK7__half2Piiii
		.amdhsa_group_segment_fixed_size 128
		.amdhsa_private_segment_fixed_size 0
		.amdhsa_kernarg_size 288
		.amdhsa_user_sgpr_count 6
		.amdhsa_user_sgpr_private_segment_buffer 1
		.amdhsa_user_sgpr_dispatch_ptr 0
		.amdhsa_user_sgpr_queue_ptr 0
		.amdhsa_user_sgpr_kernarg_segment_ptr 1
		.amdhsa_user_sgpr_dispatch_id 0
		.amdhsa_user_sgpr_flat_scratch_init 0
		.amdhsa_user_sgpr_private_segment_size 0
		.amdhsa_wavefront_size32 1
		.amdhsa_uses_dynamic_stack 0
		.amdhsa_system_sgpr_private_segment_wavefront_offset 0
		.amdhsa_system_sgpr_workgroup_id_x 1
		.amdhsa_system_sgpr_workgroup_id_y 1
		.amdhsa_system_sgpr_workgroup_id_z 0
		.amdhsa_system_sgpr_workgroup_info 0
		.amdhsa_system_vgpr_workitem_id 0
		.amdhsa_next_free_vgpr 10
		.amdhsa_next_free_sgpr 19
		.amdhsa_reserve_vcc 1
		.amdhsa_reserve_flat_scratch 0
		.amdhsa_float_round_mode_32 0
		.amdhsa_float_round_mode_16_64 0
		.amdhsa_float_denorm_mode_32 3
		.amdhsa_float_denorm_mode_16_64 3
		.amdhsa_dx10_clamp 1
		.amdhsa_ieee_mode 1
		.amdhsa_fp16_overflow 0
		.amdhsa_workgroup_processor_mode 1
		.amdhsa_memory_ordered 1
		.amdhsa_forward_progress 1
		.amdhsa_shared_vgpr_count 0
		.amdhsa_exception_fp_ieee_invalid_op 0
		.amdhsa_exception_fp_denorm_src 0
		.amdhsa_exception_fp_ieee_div_zero 0
		.amdhsa_exception_fp_ieee_overflow 0
		.amdhsa_exception_fp_ieee_underflow 0
		.amdhsa_exception_fp_ieee_inexact 0
		.amdhsa_exception_int_div_zero 0
	.end_amdhsa_kernel
	.section	.text._ZL25flash_attn_mask_to_KV_maxILi4EEvPK7__half2Piiii,"axG",@progbits,_ZL25flash_attn_mask_to_KV_maxILi4EEvPK7__half2Piiii,comdat
.Lfunc_end14:
	.size	_ZL25flash_attn_mask_to_KV_maxILi4EEvPK7__half2Piiii, .Lfunc_end14-_ZL25flash_attn_mask_to_KV_maxILi4EEvPK7__half2Piiii
                                        ; -- End function
	.set _ZL25flash_attn_mask_to_KV_maxILi4EEvPK7__half2Piiii.num_vgpr, 10
	.set _ZL25flash_attn_mask_to_KV_maxILi4EEvPK7__half2Piiii.num_agpr, 0
	.set _ZL25flash_attn_mask_to_KV_maxILi4EEvPK7__half2Piiii.numbered_sgpr, 19
	.set _ZL25flash_attn_mask_to_KV_maxILi4EEvPK7__half2Piiii.num_named_barrier, 0
	.set _ZL25flash_attn_mask_to_KV_maxILi4EEvPK7__half2Piiii.private_seg_size, 0
	.set _ZL25flash_attn_mask_to_KV_maxILi4EEvPK7__half2Piiii.uses_vcc, 1
	.set _ZL25flash_attn_mask_to_KV_maxILi4EEvPK7__half2Piiii.uses_flat_scratch, 0
	.set _ZL25flash_attn_mask_to_KV_maxILi4EEvPK7__half2Piiii.has_dyn_sized_stack, 0
	.set _ZL25flash_attn_mask_to_KV_maxILi4EEvPK7__half2Piiii.has_recursion, 0
	.set _ZL25flash_attn_mask_to_KV_maxILi4EEvPK7__half2Piiii.has_indirect_call, 0
	.section	.AMDGPU.csdata,"",@progbits
; Kernel info:
; codeLenInByte = 708
; TotalNumSgprs: 21
; NumVgprs: 10
; ScratchSize: 0
; MemoryBound: 0
; FloatMode: 240
; IeeeMode: 1
; LDSByteSize: 128 bytes/workgroup (compile time only)
; SGPRBlocks: 0
; VGPRBlocks: 1
; NumSGPRsForWavesPerEU: 21
; NumVGPRsForWavesPerEU: 10
; Occupancy: 16
; WaveLimiterHint : 0
; COMPUTE_PGM_RSRC2:SCRATCH_EN: 0
; COMPUTE_PGM_RSRC2:USER_SGPR: 6
; COMPUTE_PGM_RSRC2:TRAP_HANDLER: 0
; COMPUTE_PGM_RSRC2:TGID_X_EN: 1
; COMPUTE_PGM_RSRC2:TGID_Y_EN: 1
; COMPUTE_PGM_RSRC2:TGID_Z_EN: 0
; COMPUTE_PGM_RSRC2:TIDIG_COMP_CNT: 0
	.section	.text._ZL33flash_attn_stream_k_fixup_uniformILi512ELi4ELi4EEvPfPK15HIP_vector_typeIfLj2EEiiiiiiS1_IjLj3EES5_S5_,"axG",@progbits,_ZL33flash_attn_stream_k_fixup_uniformILi512ELi4ELi4EEvPfPK15HIP_vector_typeIfLj2EEiiiiiiS1_IjLj3EES5_S5_,comdat
	.globl	_ZL33flash_attn_stream_k_fixup_uniformILi512ELi4ELi4EEvPfPK15HIP_vector_typeIfLj2EEiiiiiiS1_IjLj3EES5_S5_ ; -- Begin function _ZL33flash_attn_stream_k_fixup_uniformILi512ELi4ELi4EEvPfPK15HIP_vector_typeIfLj2EEiiiiiiS1_IjLj3EES5_S5_
	.p2align	8
	.type	_ZL33flash_attn_stream_k_fixup_uniformILi512ELi4ELi4EEvPfPK15HIP_vector_typeIfLj2EEiiiiiiS1_IjLj3EES5_S5_,@function
_ZL33flash_attn_stream_k_fixup_uniformILi512ELi4ELi4EEvPfPK15HIP_vector_typeIfLj2EEiiiiiiS1_IjLj3EES5_S5_: ; @_ZL33flash_attn_stream_k_fixup_uniformILi512ELi4ELi4EEvPfPK15HIP_vector_typeIfLj2EEiiiiiiS1_IjLj3EES5_S5_
; %bb.0:
	s_clause 0x2
	s_load_dwordx8 s[12:19], s[4:5], 0x1c
	s_load_dwordx4 s[20:23], s[4:5], 0x3c
	s_load_dwordx2 s[10:11], s[4:5], 0x10
	s_waitcnt lgkmcnt(0)
	s_mul_hi_u32 s0, s15, s6
	s_add_i32 s0, s6, s0
	s_lshr_b32 s0, s0, s16
	s_mul_i32 s1, s0, s17
	s_sub_i32 s2, s6, s1
	s_mul_hi_u32 s1, s2, s18
	s_add_i32 s1, s2, s1
	s_lshr_b32 s1, s1, s19
	s_mul_i32 s3, s1, s20
	s_sub_i32 s2, s2, s3
	s_mul_hi_u32 s3, s2, s21
	s_add_i32 s3, s2, s3
	s_lshr_b32 s3, s3, s22
	s_mul_i32 s9, s3, s23
	s_lshl_b32 s15, s3, 2
	s_sub_i32 s9, s2, s9
	s_lshl_b32 s2, s9, 2
	s_add_i32 s2, s2, s7
	s_cmp_lt_i32 s2, s10
	s_cselect_b32 s2, -1, 0
	s_add_i32 s3, s15, s8
	s_cmp_lt_i32 s3, s13
	s_cselect_b32 s3, -1, 0
	s_and_b32 s2, s2, s3
	s_andn2_b32 vcc_lo, exec_lo, s2
	s_cbranch_vccnz .LBB15_6
; %bb.1:
	s_mul_i32 s0, s0, s10
	s_mul_i32 s10, s1, s13
	s_add_i32 s0, s0, s7
	s_mul_i32 s0, s0, s11
	s_add_i32 s13, s0, s8
	s_load_dwordx4 s[0:3], s[4:5], 0x0
	s_add_i32 s4, s13, s10
	s_mul_i32 s5, s11, s9
	s_add_i32 s4, s4, s15
	s_lshl_b32 s5, s5, 11
	s_lshl_b32 s4, s4, 9
	;; [unrolled: 1-line block ×3, first 2 shown]
	s_add_i32 s5, s5, s4
	s_mul_i32 s4, s14, s6
	v_or_b32_e32 v1, s5, v0
	s_add_i32 s11, s4, s14
	v_ashrrev_i32_e32 v2, 31, v1
	v_lshlrev_b64 v[1:2], 2, v[1:2]
	s_waitcnt lgkmcnt(0)
	v_add_co_u32 v1, vcc_lo, s0, v1
	v_add_co_ci_u32_e64 v2, null, s1, v2, vcc_lo
	s_add_i32 s0, s10, s8
	s_lshl_b32 s1, s11, 4
	s_add_i32 s0, s0, s1
	global_load_dword v5, v[1:2], off
	s_add_i32 s0, s0, -16
	s_ashr_i32 s1, s0, 31
	s_lshl_b64 s[0:1], s[0:1], 3
	s_add_u32 s0, s2, s0
	s_addc_u32 s1, s3, s1
	s_add_i32 s5, s11, -2
	s_load_dword s13, s[0:1], 0x4
	s_cmp_lt_i32 s5, s4
	s_cbranch_scc1 .LBB15_4
; %bb.2:
	s_lshl_b32 s16, s12, 6
	s_load_dword s15, s[0:1], 0x0
	s_ashr_i32 s17, s16, 31
	s_waitcnt lgkmcnt(0)
	v_mov_b32_e32 v6, s13
	s_lshl_b64 s[0:1], s[16:17], 2
	s_add_u32 s5, s2, s0
	s_addc_u32 s9, s3, s1
	s_add_i32 s6, s6, 1
	s_lshl_b32 s0, s7, 11
	s_lshl_b32 s1, s8, 9
	s_mul_i32 s6, s14, s6
	s_add_i32 s0, s1, s0
	s_lshl_b32 s1, s6, 13
	s_add_i32 s0, s0, s1
	s_lshl_b32 s1, s6, 4
	v_or_b32_e32 v0, s0, v0
	s_lshl_b32 s0, s12, 4
	s_add_i32 s1, s8, s1
	s_add_i32 s6, s11, -1
	s_add_i32 s0, s1, s0
	v_add_nc_u32_e32 v3, 0xffffc000, v0
	v_mov_b32_e32 v0, s15
	s_add_i32 s0, s0, s10
	s_sub_i32 s0, s0, 32
.LBB15_3:                               ; =>This Inner Loop Header: Depth=1
	v_ashrrev_i32_e32 v4, 31, v3
	s_ashr_i32 s1, s0, 31
	s_lshl_b64 s[10:11], s[0:1], 3
	s_add_u32 s10, s2, s10
	v_lshlrev_b64 v[7:8], 2, v[3:4]
	s_addc_u32 s11, s3, s11
	v_add_nc_u32_e32 v3, 0xffffe000, v3
	s_add_i32 s6, s6, -1
	s_add_i32 s0, s0, -16
	s_cmp_le_i32 s6, s4
	v_add_co_u32 v7, vcc_lo, s5, v7
	v_add_co_ci_u32_e64 v8, null, s9, v8, vcc_lo
	s_load_dwordx2 s[10:11], s[10:11], 0x0
	global_load_dword v4, v[7:8], off
	v_max_f32_e32 v7, v0, v0
	s_waitcnt lgkmcnt(0)
	v_max_f32_e64 v8, s10, s10
	v_max_f32_e32 v7, v7, v8
	v_sub_f32_e32 v8, s10, v7
	v_sub_f32_e32 v0, v0, v7
	v_mul_f32_e32 v9, 0x3fb8aa3b, v8
	v_mul_f32_e32 v12, 0x3fb8aa3b, v0
	v_cmp_ngt_f32_e32 vcc_lo, 0xc2ce8ed0, v8
	v_fma_f32 v10, 0x3fb8aa3b, v8, -v9
	v_rndne_f32_e32 v11, v9
	v_fma_f32 v13, 0x3fb8aa3b, v0, -v12
	v_rndne_f32_e32 v14, v12
	v_fmac_f32_e32 v10, 0x32a5705f, v8
	v_sub_f32_e32 v9, v9, v11
	v_fmac_f32_e32 v13, 0x32a5705f, v0
	v_cvt_i32_f32_e32 v11, v11
	v_add_f32_e32 v9, v9, v10
	v_sub_f32_e32 v10, v12, v14
	v_exp_f32_e32 v9, v9
	v_add_f32_e32 v10, v10, v13
	v_exp_f32_e32 v10, v10
	v_ldexp_f32 v9, v9, v11
	v_cvt_i32_f32_e32 v11, v14
	v_cndmask_b32_e32 v9, 0, v9, vcc_lo
	v_cmp_nlt_f32_e32 vcc_lo, 0x42b17218, v8
	v_ldexp_f32 v10, v10, v11
	v_mov_b32_e32 v11, v6
	v_cndmask_b32_e32 v9, 0x7f800000, v9, vcc_lo
	v_cmp_ngt_f32_e32 vcc_lo, 0xc2ce8ed0, v0
	v_cndmask_b32_e32 v10, 0, v10, vcc_lo
	v_cmp_le_f32_e32 vcc_lo, 0xc1a00000, v8
	v_cndmask_b32_e32 v8, 0, v9, vcc_lo
	v_cmp_nlt_f32_e32 vcc_lo, 0x42b17218, v0
	s_waitcnt vmcnt(1)
	v_mov_b32_e32 v9, v5
	v_cndmask_b32_e32 v5, 0x7f800000, v10, vcc_lo
	v_mul_f32_e32 v10, s11, v8
	v_cmp_le_f32_e32 vcc_lo, 0xc1a00000, v0
	v_mov_b32_e32 v0, v7
	v_mov_b32_e32 v6, v10
	v_cndmask_b32_e32 v12, 0, v5, vcc_lo
	v_fmac_f32_e32 v6, v11, v12
	s_waitcnt vmcnt(0)
	v_mul_f32_e32 v5, v4, v8
	v_fmac_f32_e32 v5, v9, v12
	s_cbranch_scc0 .LBB15_3
	s_branch .LBB15_5
.LBB15_4:
	s_waitcnt lgkmcnt(0)
	v_mov_b32_e32 v6, s13
.LBB15_5:
	s_waitcnt vmcnt(0)
	v_div_scale_f32 v0, null, v6, v6, v5
	v_rcp_f32_e32 v3, v0
	v_fma_f32 v4, -v0, v3, 1.0
	v_fmac_f32_e32 v3, v4, v3
	v_div_scale_f32 v4, vcc_lo, v5, v6, v5
	v_mul_f32_e32 v7, v4, v3
	v_fma_f32 v8, -v0, v7, v4
	v_fmac_f32_e32 v7, v8, v3
	v_fma_f32 v0, -v0, v7, v4
	v_div_fmas_f32 v0, v0, v3, v7
	v_div_fixup_f32 v0, v0, v6, v5
	global_store_dword v[1:2], v0, off
.LBB15_6:
	s_endpgm
	.section	.rodata,"a",@progbits
	.p2align	6, 0x0
	.amdhsa_kernel _ZL33flash_attn_stream_k_fixup_uniformILi512ELi4ELi4EEvPfPK15HIP_vector_typeIfLj2EEiiiiiiS1_IjLj3EES5_S5_
		.amdhsa_group_segment_fixed_size 0
		.amdhsa_private_segment_fixed_size 0
		.amdhsa_kernarg_size 76
		.amdhsa_user_sgpr_count 6
		.amdhsa_user_sgpr_private_segment_buffer 1
		.amdhsa_user_sgpr_dispatch_ptr 0
		.amdhsa_user_sgpr_queue_ptr 0
		.amdhsa_user_sgpr_kernarg_segment_ptr 1
		.amdhsa_user_sgpr_dispatch_id 0
		.amdhsa_user_sgpr_flat_scratch_init 0
		.amdhsa_user_sgpr_private_segment_size 0
		.amdhsa_wavefront_size32 1
		.amdhsa_uses_dynamic_stack 0
		.amdhsa_system_sgpr_private_segment_wavefront_offset 0
		.amdhsa_system_sgpr_workgroup_id_x 1
		.amdhsa_system_sgpr_workgroup_id_y 1
		.amdhsa_system_sgpr_workgroup_id_z 1
		.amdhsa_system_sgpr_workgroup_info 0
		.amdhsa_system_vgpr_workitem_id 0
		.amdhsa_next_free_vgpr 15
		.amdhsa_next_free_sgpr 24
		.amdhsa_reserve_vcc 1
		.amdhsa_reserve_flat_scratch 0
		.amdhsa_float_round_mode_32 0
		.amdhsa_float_round_mode_16_64 0
		.amdhsa_float_denorm_mode_32 3
		.amdhsa_float_denorm_mode_16_64 3
		.amdhsa_dx10_clamp 1
		.amdhsa_ieee_mode 1
		.amdhsa_fp16_overflow 0
		.amdhsa_workgroup_processor_mode 1
		.amdhsa_memory_ordered 1
		.amdhsa_forward_progress 1
		.amdhsa_shared_vgpr_count 0
		.amdhsa_exception_fp_ieee_invalid_op 0
		.amdhsa_exception_fp_denorm_src 0
		.amdhsa_exception_fp_ieee_div_zero 0
		.amdhsa_exception_fp_ieee_overflow 0
		.amdhsa_exception_fp_ieee_underflow 0
		.amdhsa_exception_fp_ieee_inexact 0
		.amdhsa_exception_int_div_zero 0
	.end_amdhsa_kernel
	.section	.text._ZL33flash_attn_stream_k_fixup_uniformILi512ELi4ELi4EEvPfPK15HIP_vector_typeIfLj2EEiiiiiiS1_IjLj3EES5_S5_,"axG",@progbits,_ZL33flash_attn_stream_k_fixup_uniformILi512ELi4ELi4EEvPfPK15HIP_vector_typeIfLj2EEiiiiiiS1_IjLj3EES5_S5_,comdat
.Lfunc_end15:
	.size	_ZL33flash_attn_stream_k_fixup_uniformILi512ELi4ELi4EEvPfPK15HIP_vector_typeIfLj2EEiiiiiiS1_IjLj3EES5_S5_, .Lfunc_end15-_ZL33flash_attn_stream_k_fixup_uniformILi512ELi4ELi4EEvPfPK15HIP_vector_typeIfLj2EEiiiiiiS1_IjLj3EES5_S5_
                                        ; -- End function
	.set _ZL33flash_attn_stream_k_fixup_uniformILi512ELi4ELi4EEvPfPK15HIP_vector_typeIfLj2EEiiiiiiS1_IjLj3EES5_S5_.num_vgpr, 15
	.set _ZL33flash_attn_stream_k_fixup_uniformILi512ELi4ELi4EEvPfPK15HIP_vector_typeIfLj2EEiiiiiiS1_IjLj3EES5_S5_.num_agpr, 0
	.set _ZL33flash_attn_stream_k_fixup_uniformILi512ELi4ELi4EEvPfPK15HIP_vector_typeIfLj2EEiiiiiiS1_IjLj3EES5_S5_.numbered_sgpr, 24
	.set _ZL33flash_attn_stream_k_fixup_uniformILi512ELi4ELi4EEvPfPK15HIP_vector_typeIfLj2EEiiiiiiS1_IjLj3EES5_S5_.num_named_barrier, 0
	.set _ZL33flash_attn_stream_k_fixup_uniformILi512ELi4ELi4EEvPfPK15HIP_vector_typeIfLj2EEiiiiiiS1_IjLj3EES5_S5_.private_seg_size, 0
	.set _ZL33flash_attn_stream_k_fixup_uniformILi512ELi4ELi4EEvPfPK15HIP_vector_typeIfLj2EEiiiiiiS1_IjLj3EES5_S5_.uses_vcc, 1
	.set _ZL33flash_attn_stream_k_fixup_uniformILi512ELi4ELi4EEvPfPK15HIP_vector_typeIfLj2EEiiiiiiS1_IjLj3EES5_S5_.uses_flat_scratch, 0
	.set _ZL33flash_attn_stream_k_fixup_uniformILi512ELi4ELi4EEvPfPK15HIP_vector_typeIfLj2EEiiiiiiS1_IjLj3EES5_S5_.has_dyn_sized_stack, 0
	.set _ZL33flash_attn_stream_k_fixup_uniformILi512ELi4ELi4EEvPfPK15HIP_vector_typeIfLj2EEiiiiiiS1_IjLj3EES5_S5_.has_recursion, 0
	.set _ZL33flash_attn_stream_k_fixup_uniformILi512ELi4ELi4EEvPfPK15HIP_vector_typeIfLj2EEiiiiiiS1_IjLj3EES5_S5_.has_indirect_call, 0
	.section	.AMDGPU.csdata,"",@progbits
; Kernel info:
; codeLenInByte = 848
; TotalNumSgprs: 26
; NumVgprs: 15
; ScratchSize: 0
; MemoryBound: 0
; FloatMode: 240
; IeeeMode: 1
; LDSByteSize: 0 bytes/workgroup (compile time only)
; SGPRBlocks: 0
; VGPRBlocks: 1
; NumSGPRsForWavesPerEU: 26
; NumVGPRsForWavesPerEU: 15
; Occupancy: 16
; WaveLimiterHint : 0
; COMPUTE_PGM_RSRC2:SCRATCH_EN: 0
; COMPUTE_PGM_RSRC2:USER_SGPR: 6
; COMPUTE_PGM_RSRC2:TRAP_HANDLER: 0
; COMPUTE_PGM_RSRC2:TGID_X_EN: 1
; COMPUTE_PGM_RSRC2:TGID_Y_EN: 1
; COMPUTE_PGM_RSRC2:TGID_Z_EN: 1
; COMPUTE_PGM_RSRC2:TIDIG_COMP_CNT: 0
	.section	.text._ZL33flash_attn_stream_k_fixup_generalILi512ELi4ELi4EEvPfPK15HIP_vector_typeIfLj2EEiiiiS1_IjLj3EES5_S5_S5_,"axG",@progbits,_ZL33flash_attn_stream_k_fixup_generalILi512ELi4ELi4EEvPfPK15HIP_vector_typeIfLj2EEiiiiS1_IjLj3EES5_S5_S5_,comdat
	.globl	_ZL33flash_attn_stream_k_fixup_generalILi512ELi4ELi4EEvPfPK15HIP_vector_typeIfLj2EEiiiiS1_IjLj3EES5_S5_S5_ ; -- Begin function _ZL33flash_attn_stream_k_fixup_generalILi512ELi4ELi4EEvPfPK15HIP_vector_typeIfLj2EEiiiiS1_IjLj3EES5_S5_S5_
	.p2align	8
	.type	_ZL33flash_attn_stream_k_fixup_generalILi512ELi4ELi4EEvPfPK15HIP_vector_typeIfLj2EEiiiiS1_IjLj3EES5_S5_S5_,@function
_ZL33flash_attn_stream_k_fixup_generalILi512ELi4ELi4EEvPfPK15HIP_vector_typeIfLj2EEiiiiS1_IjLj3EES5_S5_S5_: ; @_ZL33flash_attn_stream_k_fixup_generalILi512ELi4ELi4EEvPfPK15HIP_vector_typeIfLj2EEiiiiS1_IjLj3EES5_S5_S5_
; %bb.0:
	s_clause 0x1
	s_load_dwordx4 s[0:3], s[4:5], 0x10
	s_load_dword s9, s[4:5], 0x50
	s_mov_b32 s16, 0
	s_waitcnt lgkmcnt(0)
	s_mul_hi_i32 s17, s3, s6
	s_mul_i32 s18, s3, s6
	s_cmp_lg_u64 s[16:17], 0
	s_cbranch_scc0 .LBB16_21
; %bb.1:
	s_add_u32 s10, s9, 0
	s_addc_u32 s11, 0, 0
	s_xor_b64 s[10:11], s[10:11], 0
	v_cvt_f32_u32_e32 v1, s10
	v_cvt_f32_u32_e32 v2, s11
	s_sub_u32 s14, 0, s10
	s_subb_u32 s15, 0, s11
	v_fmamk_f32 v1, v2, 0x4f800000, v1
	v_rcp_f32_e32 v1, v1
	v_mul_f32_e32 v1, 0x5f7ffffc, v1
	v_mul_f32_e32 v2, 0x2f800000, v1
	v_trunc_f32_e32 v2, v2
	v_fmamk_f32 v1, v2, 0xcf800000, v1
	v_cvt_u32_f32_e32 v2, v2
	v_cvt_u32_f32_e32 v1, v1
	v_readfirstlane_b32 s12, v2
	v_readfirstlane_b32 s13, v1
	s_mul_i32 s19, s14, s12
	s_mul_hi_u32 s21, s14, s13
	s_mul_i32 s20, s15, s13
	s_add_i32 s19, s21, s19
	s_mul_i32 s22, s14, s13
	s_add_i32 s19, s19, s20
	s_mul_hi_u32 s21, s13, s22
	s_mul_i32 s24, s13, s19
	s_mul_hi_u32 s23, s12, s22
	s_mul_i32 s20, s12, s22
	s_mul_hi_u32 s22, s13, s19
	s_add_u32 s21, s21, s24
	s_addc_u32 s22, 0, s22
	s_mul_hi_u32 s25, s12, s19
	s_add_u32 s20, s21, s20
	s_mul_i32 s19, s12, s19
	s_addc_u32 s20, s22, s23
	s_addc_u32 s21, s25, 0
	s_add_u32 s19, s20, s19
	s_addc_u32 s20, 0, s21
	s_add_u32 s13, s13, s19
	s_cselect_b32 s19, -1, 0
	s_mul_hi_u32 s21, s14, s13
	s_cmp_lg_u32 s19, 0
	s_mul_i32 s19, s14, s13
	s_addc_u32 s12, s12, s20
	s_mul_i32 s15, s15, s13
	s_mul_i32 s14, s14, s12
	s_mul_hi_u32 s20, s13, s19
	s_add_i32 s14, s21, s14
	s_mul_hi_u32 s21, s12, s19
	s_add_i32 s14, s14, s15
	s_mul_i32 s15, s12, s19
	s_mul_i32 s23, s13, s14
	s_mul_hi_u32 s22, s13, s14
	s_add_u32 s20, s20, s23
	s_addc_u32 s22, 0, s22
	s_mul_hi_u32 s19, s12, s14
	s_add_u32 s15, s20, s15
	s_mul_i32 s14, s12, s14
	s_addc_u32 s15, s22, s21
	s_addc_u32 s19, s19, 0
	s_add_u32 s14, s15, s14
	s_addc_u32 s15, 0, s19
	s_add_u32 s19, s13, s14
	s_cselect_b32 s13, -1, 0
	s_cmp_lg_u32 s13, 0
	s_addc_u32 s20, s12, s15
	s_ashr_i32 s12, s17, 31
	s_add_u32 s14, s18, s12
	s_mov_b32 s13, s12
	s_addc_u32 s15, s17, s12
	s_xor_b64 s[14:15], s[14:15], s[12:13]
	s_mul_i32 s21, s14, s20
	s_mul_hi_u32 s22, s14, s19
	s_mul_hi_u32 s17, s14, s20
	;; [unrolled: 1-line block ×3, first 2 shown]
	s_mul_i32 s19, s15, s19
	s_add_u32 s21, s22, s21
	s_addc_u32 s17, 0, s17
	s_mul_hi_u32 s23, s15, s20
	s_add_u32 s19, s21, s19
	s_mul_i32 s20, s15, s20
	s_addc_u32 s17, s17, s24
	s_addc_u32 s19, s23, 0
	s_add_u32 s17, s17, s20
	s_addc_u32 s19, 0, s19
	s_mul_hi_u32 s20, s10, s17
	s_mul_i32 s21, s10, s19
	s_mul_i32 s22, s11, s17
	s_add_i32 s20, s20, s21
	s_mul_i32 s21, s10, s17
	s_add_i32 s20, s20, s22
	s_sub_i32 s22, s15, s20
	s_sub_u32 s14, s14, s21
	s_cselect_b32 s21, -1, 0
	s_cmp_lg_u32 s21, 0
	s_subb_u32 s22, s22, s11
	s_sub_u32 s23, s14, s10
	s_cselect_b32 s24, -1, 0
	s_cmp_lg_u32 s24, 0
	s_subb_u32 s22, s22, 0
	s_cmp_ge_u32 s22, s11
	s_cselect_b32 s24, -1, 0
	s_cmp_ge_u32 s23, s10
	s_cselect_b32 s23, -1, 0
	s_cmp_eq_u32 s22, s11
	s_cselect_b32 s22, s23, s24
	s_add_u32 s23, s17, 1
	s_addc_u32 s24, s19, 0
	s_add_u32 s25, s17, 2
	s_addc_u32 s26, s19, 0
	s_cmp_lg_u32 s22, 0
	s_cselect_b32 s22, s25, s23
	s_cselect_b32 s23, s26, s24
	s_cmp_lg_u32 s21, 0
	s_subb_u32 s15, s15, s20
	s_cmp_ge_u32 s15, s11
	s_cselect_b32 s20, -1, 0
	s_cmp_ge_u32 s14, s10
	s_cselect_b32 s10, -1, 0
	s_cmp_eq_u32 s15, s11
	s_cselect_b32 s10, s10, s20
	s_cmp_lg_u32 s10, 0
	s_cselect_b32 s11, s23, s19
	s_cselect_b32 s10, s22, s17
	s_xor_b64 s[12:13], s[12:13], 0
	s_xor_b64 s[10:11], s[10:11], s[12:13]
	s_sub_u32 s10, s10, s12
	s_load_dwordx4 s[12:15], s[4:5], 0x44
	s_andn2_b32 vcc_lo, exec_lo, s16
	s_cbranch_vccnz .LBB16_3
.LBB16_2:
	v_cvt_f32_u32_e32 v1, s9
	s_sub_i32 s11, 0, s9
	v_rcp_iflag_f32_e32 v1, v1
	v_mul_f32_e32 v1, 0x4f7ffffe, v1
	v_cvt_u32_f32_e32 v1, v1
	v_readfirstlane_b32 s10, v1
	s_mul_i32 s11, s11, s10
	s_mul_hi_u32 s11, s10, s11
	s_add_i32 s10, s10, s11
	s_mul_hi_u32 s10, s18, s10
	s_mul_i32 s11, s10, s9
	s_waitcnt lgkmcnt(0)
	s_add_i32 s15, s10, 1
	s_sub_i32 s11, s18, s11
	s_sub_i32 s16, s11, s9
	s_cmp_ge_u32 s11, s9
	s_cselect_b32 s10, s15, s10
	s_cselect_b32 s11, s16, s11
	s_add_i32 s15, s10, 1
	s_cmp_ge_u32 s11, s9
	s_cselect_b32 s10, s15, s10
.LBB16_3:
	s_add_i32 s11, s6, 1
	s_mov_b32 s16, 0
	s_mul_hi_i32 s17, s3, s11
	s_mul_i32 s11, s3, s11
	s_cmp_lg_u64 s[16:17], 0
	s_cbranch_scc0 .LBB16_22
; %bb.4:
	s_add_u32 s18, s9, 0
	s_addc_u32 s19, 0, 0
	s_xor_b64 s[18:19], s[18:19], 0
	v_cvt_f32_u32_e32 v1, s18
	v_cvt_f32_u32_e32 v2, s19
	s_sub_u32 s21, 0, s18
	s_subb_u32 s22, 0, s19
	v_fmamk_f32 v1, v2, 0x4f800000, v1
	v_rcp_f32_e32 v1, v1
	v_mul_f32_e32 v1, 0x5f7ffffc, v1
	v_mul_f32_e32 v2, 0x2f800000, v1
	v_trunc_f32_e32 v2, v2
	v_fmamk_f32 v1, v2, 0xcf800000, v1
	v_cvt_u32_f32_e32 v2, v2
	v_cvt_u32_f32_e32 v1, v1
	s_waitcnt lgkmcnt(0)
	v_readfirstlane_b32 s15, v2
	v_readfirstlane_b32 s20, v1
	s_mul_i32 s23, s21, s15
	s_mul_hi_u32 s25, s21, s20
	s_mul_i32 s24, s22, s20
	s_add_i32 s23, s25, s23
	s_mul_i32 s26, s21, s20
	s_add_i32 s23, s23, s24
	s_mul_hi_u32 s25, s20, s26
	s_mul_i32 s28, s20, s23
	s_mul_hi_u32 s27, s15, s26
	s_mul_i32 s24, s15, s26
	s_mul_hi_u32 s26, s20, s23
	s_add_u32 s25, s25, s28
	s_addc_u32 s26, 0, s26
	s_mul_hi_u32 s29, s15, s23
	s_add_u32 s24, s25, s24
	s_mul_i32 s23, s15, s23
	s_addc_u32 s24, s26, s27
	s_addc_u32 s25, s29, 0
	s_add_u32 s23, s24, s23
	s_addc_u32 s24, 0, s25
	s_add_u32 s20, s20, s23
	s_cselect_b32 s23, -1, 0
	s_mul_hi_u32 s25, s21, s20
	s_cmp_lg_u32 s23, 0
	s_mul_i32 s23, s21, s20
	s_addc_u32 s15, s15, s24
	s_mul_i32 s22, s22, s20
	s_mul_i32 s21, s21, s15
	s_mul_hi_u32 s24, s20, s23
	s_add_i32 s21, s25, s21
	s_mul_hi_u32 s25, s15, s23
	s_add_i32 s21, s21, s22
	s_mul_i32 s22, s15, s23
	s_mul_i32 s27, s20, s21
	s_mul_hi_u32 s26, s20, s21
	s_add_u32 s24, s24, s27
	s_addc_u32 s26, 0, s26
	s_mul_hi_u32 s23, s15, s21
	s_add_u32 s22, s24, s22
	s_mul_i32 s21, s15, s21
	s_addc_u32 s22, s26, s25
	s_addc_u32 s23, s23, 0
	s_add_u32 s21, s22, s21
	s_addc_u32 s22, 0, s23
	s_add_u32 s24, s20, s21
	s_cselect_b32 s20, -1, 0
	s_cmp_lg_u32 s20, 0
	s_addc_u32 s15, s15, s22
	s_ashr_i32 s20, s17, 31
	s_add_u32 s22, s11, s20
	s_mov_b32 s21, s20
	s_addc_u32 s23, s17, s20
	s_xor_b64 s[22:23], s[22:23], s[20:21]
	s_mul_i32 s25, s22, s15
	s_mul_hi_u32 s26, s22, s24
	s_mul_hi_u32 s17, s22, s15
	;; [unrolled: 1-line block ×3, first 2 shown]
	s_mul_i32 s24, s23, s24
	s_add_u32 s25, s26, s25
	s_addc_u32 s17, 0, s17
	s_mul_hi_u32 s27, s23, s15
	s_add_u32 s24, s25, s24
	s_mul_i32 s15, s23, s15
	s_addc_u32 s17, s17, s28
	s_addc_u32 s24, s27, 0
	s_add_u32 s15, s17, s15
	s_addc_u32 s17, 0, s24
	s_mul_hi_u32 s24, s18, s15
	s_mul_i32 s25, s18, s17
	s_mul_i32 s26, s19, s15
	s_add_i32 s24, s24, s25
	s_mul_i32 s25, s18, s15
	s_add_i32 s24, s24, s26
	s_sub_i32 s26, s23, s24
	s_sub_u32 s22, s22, s25
	s_cselect_b32 s25, -1, 0
	s_cmp_lg_u32 s25, 0
	s_subb_u32 s26, s26, s19
	s_sub_u32 s27, s22, s18
	s_cselect_b32 s28, -1, 0
	s_cmp_lg_u32 s28, 0
	s_subb_u32 s26, s26, 0
	s_cmp_ge_u32 s26, s19
	s_cselect_b32 s28, -1, 0
	s_cmp_ge_u32 s27, s18
	s_cselect_b32 s27, -1, 0
	s_cmp_eq_u32 s26, s19
	s_cselect_b32 s26, s27, s28
	s_add_u32 s27, s15, 1
	s_addc_u32 s28, s17, 0
	s_add_u32 s29, s15, 2
	s_addc_u32 s30, s17, 0
	s_cmp_lg_u32 s26, 0
	s_cselect_b32 s26, s29, s27
	s_cselect_b32 s27, s30, s28
	s_cmp_lg_u32 s25, 0
	s_subb_u32 s23, s23, s24
	s_cmp_ge_u32 s23, s19
	s_cselect_b32 s24, -1, 0
	s_cmp_ge_u32 s22, s18
	s_cselect_b32 s18, -1, 0
	s_cmp_eq_u32 s23, s19
	s_cselect_b32 s18, s18, s24
	s_cmp_lg_u32 s18, 0
	s_cselect_b32 s19, s27, s17
	s_cselect_b32 s18, s26, s15
	s_xor_b64 s[20:21], s[20:21], 0
	s_xor_b64 s[18:19], s[18:19], s[20:21]
	s_sub_u32 s18, s18, s20
	s_andn2_b32 vcc_lo, exec_lo, s16
	s_cbranch_vccnz .LBB16_6
.LBB16_5:
	v_cvt_f32_u32_e32 v1, s9
	s_sub_i32 s16, 0, s9
	v_rcp_iflag_f32_e32 v1, v1
	v_mul_f32_e32 v1, 0x4f7ffffe, v1
	v_cvt_u32_f32_e32 v1, v1
	s_waitcnt lgkmcnt(0)
	v_readfirstlane_b32 s15, v1
	s_mul_i32 s16, s16, s15
	s_mul_hi_u32 s16, s15, s16
	s_add_i32 s15, s15, s16
	s_mul_hi_u32 s15, s11, s15
	s_mul_i32 s16, s15, s9
	s_sub_i32 s11, s11, s16
	s_add_i32 s16, s15, 1
	s_sub_i32 s17, s11, s9
	s_cmp_ge_u32 s11, s9
	s_cselect_b32 s15, s16, s15
	s_cselect_b32 s11, s17, s11
	s_add_i32 s16, s15, 1
	s_cmp_ge_u32 s11, s9
	s_cselect_b32 s18, s16, s15
.LBB16_6:
	s_cmp_eq_u32 s10, s18
	s_waitcnt lgkmcnt(0)
	s_mul_hi_u32 s11, s10, s12
	s_cselect_b32 s15, -1, 0
	s_add_i32 s11, s11, s10
	s_lshr_b32 s11, s11, s13
	s_mul_i32 s16, s11, s14
	s_cmp_eq_u32 s16, s10
	s_mul_hi_u32 s16, s18, s12
	s_cselect_b32 s17, -1, 0
	s_add_i32 s16, s16, s18
	s_lshr_b32 s16, s16, s13
	s_cmp_eq_u32 s11, s16
	s_mul_i32 s16, s16, s14
	s_cselect_b32 s19, -1, 0
	s_cmp_lg_u32 s16, s18
	s_cselect_b32 s16, -1, 0
	s_or_b32 s15, s15, s17
	s_and_b32 s16, s19, s16
	s_or_b32 s15, s15, s16
	s_and_b32 vcc_lo, exec_lo, s15
	s_cbranch_vccnz .LBB16_24
; %bb.7:
	s_clause 0x1
	s_load_dwordx8 s[20:27], s[4:5], 0x20
	s_load_dword s16, s[4:5], 0x40
	s_waitcnt lgkmcnt(0)
	s_mul_hi_u32 s15, s10, s20
	s_add_i32 s15, s15, s10
	s_lshr_b32 s15, s15, s21
	s_mul_i32 s17, s15, s22
	s_sub_i32 s17, s10, s17
	s_mul_hi_u32 s18, s17, s23
	s_add_i32 s18, s17, s18
	s_lshr_b32 s22, s18, s24
	s_mul_i32 s18, s22, s25
	s_sub_i32 s17, s17, s18
	s_mul_hi_u32 s18, s17, s26
	s_add_i32 s18, s17, s18
	s_lshr_b32 s18, s18, s27
	s_mul_i32 s16, s18, s16
	s_lshl_b32 s24, s18, 2
	s_sub_i32 s16, s17, s16
	s_mul_hi_u32 s17, s16, s12
	s_add_i32 s16, s16, s17
	s_lshr_b32 s23, s16, s13
	s_lshl_b32 s16, s23, 2
	s_add_i32 s16, s16, s7
	s_cmp_lt_i32 s16, s0
	s_cselect_b32 s16, -1, 0
	s_add_i32 s17, s24, s8
	s_cmp_lt_i32 s17, s2
	s_cselect_b32 s17, -1, 0
	s_and_b32 s16, s16, s17
	s_andn2_b32 vcc_lo, exec_lo, s16
	s_cbranch_vccnz .LBB16_24
; %bb.8:
	s_load_dwordx4 s[16:19], s[4:5], 0x0
	s_mov_b32 s4, 0
	s_lshl_b32 s20, s9, 6
	s_mov_b32 s21, s4
	s_lshl_b32 s5, s7, 2
	s_lshl_b64 s[20:21], s[20:21], 2
	s_mul_i32 s0, s15, s0
	s_add_i32 s15, s5, s8
	s_mul_i32 s22, s22, s2
	v_cvt_f32_u32_e32 v4, s9
	v_rcp_iflag_f32_e32 v4, v4
	s_waitcnt lgkmcnt(0)
	s_add_u32 s20, s18, s20
	s_addc_u32 s21, s19, s21
	s_add_i32 s0, s0, s7
	s_mul_i32 s0, s0, s1
	s_mul_i32 s1, s1, s23
	s_add_i32 s0, s0, s8
	s_lshl_b32 s1, s1, 11
	s_add_i32 s0, s0, s22
	v_mul_f32_e32 v4, 0x4f7ffffe, v4
	s_add_i32 s0, s0, s24
	s_lshl_b32 s0, s0, 9
	s_add_i32 s1, s1, s0
	s_lshl_b32 s0, s6, 4
	v_or_b32_e32 v1, s1, v0
	s_add_i32 s0, s15, s0
	v_lshl_or_b32 v0, s15, 9, v0
	s_ashr_i32 s1, s0, 31
	v_cvt_u32_f32_e32 v4, v4
	v_ashrrev_i32_e32 v2, 31, v1
	s_lshl_b64 s[0:1], s[0:1], 3
	s_add_u32 s0, s18, s0
	s_addc_u32 s1, s19, s1
	v_lshlrev_b64 v[1:2], 2, v[1:2]
	s_load_dwordx2 s[0:1], s[0:1], 0x0
	s_add_i32 s8, s6, -1
	s_sub_i32 s2, 0, s9
	v_add_co_u32 v1, vcc_lo, s16, v1
	v_add_co_ci_u32_e64 v2, null, s17, v2, vcc_lo
	global_load_dword v3, v[1:2], off
	s_waitcnt lgkmcnt(0)
	v_mov_b32_e32 v5, s1
	v_mov_b32_e32 v6, s0
.LBB16_9:                               ; =>This Inner Loop Header: Depth=1
	s_mul_hi_i32 s5, s8, s3
	s_mul_i32 s6, s8, s3
	s_cmp_lg_u64 s[4:5], 0
	s_mov_b32 s7, -1
                                        ; implicit-def: $sgpr0_sgpr1
	s_cbranch_scc0 .LBB16_11
; %bb.10:                               ;   in Loop: Header=BB16_9 Depth=1
	s_add_u32 s0, s9, 0
	s_addc_u32 s1, 0, 0
	s_xor_b64 s[0:1], s[0:1], 0
	v_cvt_f32_u32_e32 v7, s0
	v_cvt_f32_u32_e32 v8, s1
	s_sub_u32 s17, 0, s0
	s_subb_u32 s22, 0, s1
	v_fmac_f32_e32 v7, 0x4f800000, v8
	v_rcp_f32_e32 v7, v7
	v_mul_f32_e32 v7, 0x5f7ffffc, v7
	v_mul_f32_e32 v8, 0x2f800000, v7
	v_trunc_f32_e32 v8, v8
	v_fmac_f32_e32 v7, 0xcf800000, v8
	v_cvt_u32_f32_e32 v8, v8
	v_cvt_u32_f32_e32 v7, v7
	v_readfirstlane_b32 s7, v8
	v_readfirstlane_b32 s16, v7
	s_mul_i32 s23, s17, s7
	s_mul_hi_u32 s25, s17, s16
	s_mul_i32 s24, s22, s16
	s_add_i32 s23, s25, s23
	s_mul_i32 s26, s17, s16
	s_add_i32 s23, s23, s24
	s_mul_hi_u32 s25, s16, s26
	s_mul_i32 s28, s16, s23
	s_mul_hi_u32 s27, s7, s26
	s_mul_i32 s24, s7, s26
	s_mul_hi_u32 s26, s16, s23
	s_add_u32 s25, s25, s28
	s_addc_u32 s26, 0, s26
	s_mul_hi_u32 s29, s7, s23
	s_add_u32 s24, s25, s24
	s_mul_i32 s23, s7, s23
	s_addc_u32 s24, s26, s27
	s_addc_u32 s25, s29, 0
	s_add_u32 s23, s24, s23
	s_addc_u32 s24, 0, s25
	s_add_u32 s16, s16, s23
	s_cselect_b32 s23, -1, 0
	s_mul_hi_u32 s25, s17, s16
	s_cmp_lg_u32 s23, 0
	s_mul_i32 s23, s17, s16
	s_addc_u32 s7, s7, s24
	s_mul_i32 s22, s22, s16
	s_mul_i32 s17, s17, s7
	s_mul_hi_u32 s24, s16, s23
	s_add_i32 s17, s25, s17
	s_mul_hi_u32 s25, s7, s23
	s_add_i32 s17, s17, s22
	s_mul_i32 s22, s7, s23
	s_mul_i32 s27, s16, s17
	s_mul_hi_u32 s26, s16, s17
	s_add_u32 s24, s24, s27
	s_addc_u32 s26, 0, s26
	s_mul_hi_u32 s23, s7, s17
	s_add_u32 s22, s24, s22
	s_mul_i32 s17, s7, s17
	s_addc_u32 s22, s26, s25
	s_addc_u32 s23, s23, 0
	s_add_u32 s17, s22, s17
	s_addc_u32 s22, 0, s23
	s_add_u32 s24, s16, s17
	s_cselect_b32 s16, -1, 0
	s_cmp_lg_u32 s16, 0
	s_addc_u32 s7, s7, s22
	s_ashr_i32 s16, s5, 31
	s_add_u32 s22, s6, s16
	s_mov_b32 s17, s16
	s_addc_u32 s23, s5, s16
	s_xor_b64 s[22:23], s[22:23], s[16:17]
	s_mul_i32 s25, s22, s7
	s_mul_hi_u32 s26, s22, s24
	s_mul_hi_u32 s5, s22, s7
	;; [unrolled: 1-line block ×3, first 2 shown]
	s_mul_i32 s24, s23, s24
	s_add_u32 s25, s26, s25
	s_addc_u32 s5, 0, s5
	s_mul_hi_u32 s27, s23, s7
	s_add_u32 s24, s25, s24
	s_mul_i32 s7, s23, s7
	s_addc_u32 s5, s5, s28
	s_addc_u32 s24, s27, 0
	s_add_u32 s5, s5, s7
	s_addc_u32 s7, 0, s24
	s_mul_hi_u32 s24, s0, s5
	s_mul_i32 s25, s0, s7
	s_mul_i32 s26, s1, s5
	s_add_i32 s24, s24, s25
	s_mul_i32 s25, s0, s5
	s_add_i32 s24, s24, s26
	s_sub_i32 s26, s23, s24
	s_sub_u32 s22, s22, s25
	s_cselect_b32 s25, -1, 0
	s_cmp_lg_u32 s25, 0
	s_subb_u32 s26, s26, s1
	s_sub_u32 s27, s22, s0
	s_cselect_b32 s28, -1, 0
	s_cmp_lg_u32 s28, 0
	s_subb_u32 s26, s26, 0
	s_cmp_ge_u32 s26, s1
	s_cselect_b32 s28, -1, 0
	s_cmp_ge_u32 s27, s0
	s_cselect_b32 s27, -1, 0
	s_cmp_eq_u32 s26, s1
	s_cselect_b32 s26, s27, s28
	s_add_u32 s27, s5, 1
	s_addc_u32 s28, s7, 0
	s_add_u32 s29, s5, 2
	s_addc_u32 s30, s7, 0
	s_cmp_lg_u32 s26, 0
	s_cselect_b32 s26, s29, s27
	s_cselect_b32 s27, s30, s28
	s_cmp_lg_u32 s25, 0
	s_subb_u32 s23, s23, s24
	s_cmp_ge_u32 s23, s1
	s_cselect_b32 s24, -1, 0
	s_cmp_ge_u32 s22, s0
	s_cselect_b32 s0, -1, 0
	s_cmp_eq_u32 s23, s1
	s_cselect_b32 s0, s0, s24
	s_cmp_lg_u32 s0, 0
	s_cselect_b32 s1, s27, s7
	s_cselect_b32 s0, s26, s5
	s_xor_b64 s[16:17], s[16:17], 0
	s_mov_b32 s7, 0
	s_xor_b64 s[0:1], s[0:1], s[16:17]
	s_sub_u32 s0, s0, s16
.LBB16_11:                              ;   in Loop: Header=BB16_9 Depth=1
	s_andn2_b32 vcc_lo, exec_lo, s7
	s_cbranch_vccnz .LBB16_13
; %bb.12:                               ;   in Loop: Header=BB16_9 Depth=1
	v_readfirstlane_b32 s0, v4
	s_mul_i32 s1, s2, s0
	s_mul_hi_u32 s1, s0, s1
	s_add_i32 s0, s0, s1
	s_mul_hi_u32 s0, s6, s0
	s_mul_i32 s1, s0, s9
	s_add_i32 s5, s0, 1
	s_sub_i32 s1, s6, s1
	s_sub_i32 s6, s1, s9
	s_cmp_ge_u32 s1, s9
	s_cselect_b32 s0, s5, s0
	s_cselect_b32 s1, s6, s1
	s_add_i32 s5, s0, 1
	s_cmp_ge_u32 s1, s9
	s_cselect_b32 s0, s5, s0
.LBB16_13:                              ;   in Loop: Header=BB16_9 Depth=1
	s_cmp_lg_u32 s10, s0
	s_mov_b32 s6, -1
                                        ; implicit-def: $sgpr5
                                        ; implicit-def: $vgpr8
                                        ; implicit-def: $vgpr7
                                        ; implicit-def: $vgpr9
                                        ; implicit-def: $sgpr1
                                        ; implicit-def: $sgpr16
	s_cbranch_scc0 .LBB16_18
; %bb.14:                               ;   in Loop: Header=BB16_9 Depth=1
	s_add_i32 s1, s8, s9
	s_mov_b32 s7, s4
	s_lshl_b32 s1, s1, 4
	s_mov_b32 s16, s10
	s_add_i32 s6, s1, s15
	s_mul_hi_u32 s1, s0, s12
	s_lshl_b64 s[6:7], s[6:7], 3
	s_add_u32 s6, s18, s6
	s_addc_u32 s7, s19, s7
	s_add_i32 s1, s1, s0
	s_lshr_b32 s1, s1, s13
	s_mul_i32 s5, s1, s14
	s_cmp_eq_u32 s5, s0
	s_cselect_b32 s5, -1, 0
	s_cmp_lt_u32 s1, s11
	s_cselect_b32 s1, -1, 0
	s_or_b32 s1, s1, s5
	s_mov_b32 s5, -1
	s_and_b32 vcc_lo, exec_lo, s1
	s_mov_b32 s1, s8
	s_cbranch_vccnz .LBB16_16
; %bb.15:                               ;   in Loop: Header=BB16_9 Depth=1
	s_add_i32 s1, s8, -1
	s_mov_b32 s5, 0
	s_mov_b32 s16, s0
.LBB16_16:                              ;   in Loop: Header=BB16_9 Depth=1
	v_lshl_add_u32 v7, s8, 13, v0
	s_load_dwordx2 s[6:7], s[6:7], 0x0
	v_ashrrev_i32_e32 v8, 31, v7
	v_lshlrev_b64 v[7:8], 2, v[7:8]
	v_add_co_u32 v7, vcc_lo, s20, v7
	v_add_co_ci_u32_e64 v8, null, s21, v8, vcc_lo
	s_waitcnt lgkmcnt(0)
	v_max_f32_e64 v9, s6, s6
	global_load_dword v8, v[7:8], off
	v_max_f32_e32 v7, v6, v6
	v_max_f32_e32 v7, v7, v9
	v_sub_f32_e32 v9, s6, v7
	v_sub_f32_e32 v10, v6, v7
	v_mul_f32_e32 v11, 0x3fb8aa3b, v9
	v_mul_f32_e32 v12, 0x3fb8aa3b, v10
	v_cmp_ngt_f32_e32 vcc_lo, 0xc2ce8ed0, v9
	v_fma_f32 v13, 0x3fb8aa3b, v9, -v11
	v_rndne_f32_e32 v14, v11
	v_fma_f32 v15, 0x3fb8aa3b, v10, -v12
	v_rndne_f32_e32 v16, v12
	v_fmac_f32_e32 v13, 0x32a5705f, v9
	v_sub_f32_e32 v11, v11, v14
	v_fmac_f32_e32 v15, 0x32a5705f, v10
	v_sub_f32_e32 v12, v12, v16
	v_add_f32_e32 v11, v11, v13
	v_cvt_i32_f32_e32 v13, v14
	v_add_f32_e32 v12, v12, v15
	v_cvt_i32_f32_e32 v14, v16
	v_exp_f32_e32 v11, v11
	v_exp_f32_e32 v12, v12
	v_ldexp_f32 v11, v11, v13
	v_ldexp_f32 v12, v12, v14
	v_cndmask_b32_e32 v11, 0, v11, vcc_lo
	v_cmp_ngt_f32_e32 vcc_lo, 0xc2ce8ed0, v10
	v_cndmask_b32_e32 v12, 0, v12, vcc_lo
	v_cmp_nlt_f32_e32 vcc_lo, 0x42b17218, v9
	v_cndmask_b32_e32 v11, 0x7f800000, v11, vcc_lo
	v_cmp_nlt_f32_e32 vcc_lo, 0x42b17218, v10
	v_cndmask_b32_e32 v12, 0x7f800000, v12, vcc_lo
	v_cmp_le_f32_e32 vcc_lo, 0xc1a00000, v9
	v_cndmask_b32_e32 v9, 0, v11, vcc_lo
	v_cmp_le_f32_e32 vcc_lo, 0xc1a00000, v10
	v_cndmask_b32_e32 v10, 0, v12, vcc_lo
	s_waitcnt vmcnt(0)
	v_mul_f32_e32 v8, v8, v9
	v_mul_f32_e32 v9, s7, v9
	v_fmac_f32_e32 v8, v3, v10
	v_fmac_f32_e32 v9, v5, v10
	s_cbranch_execz .LBB16_19
.LBB16_17:                              ;   in Loop: Header=BB16_9 Depth=1
	s_andn2_b32 vcc_lo, exec_lo, s5
	s_cbranch_vccnz .LBB16_20
	s_branch .LBB16_23
.LBB16_18:                              ;   in Loop: Header=BB16_9 Depth=1
	s_andn2_b32 vcc_lo, exec_lo, s6
	s_cbranch_vccnz .LBB16_17
.LBB16_19:                              ;   in Loop: Header=BB16_9 Depth=1
	v_mov_b32_e32 v9, v5
	v_mov_b32_e32 v7, v6
	s_waitcnt vmcnt(0)
	v_mov_b32_e32 v8, v3
	s_add_i32 s1, s8, -1
	s_mov_b32 s16, s10
	s_cbranch_execz .LBB16_23
.LBB16_20:                              ;   in Loop: Header=BB16_9 Depth=1
	v_mov_b32_e32 v5, v9
	v_mov_b32_e32 v6, v7
	s_waitcnt vmcnt(0)
	v_mov_b32_e32 v3, v8
	s_mov_b32 s10, s16
	s_mov_b32 s8, s1
	s_branch .LBB16_9
.LBB16_21:
                                        ; implicit-def: $sgpr10_sgpr11
	s_load_dwordx4 s[12:15], s[4:5], 0x44
	s_branch .LBB16_2
.LBB16_22:
                                        ; implicit-def: $sgpr18_sgpr19
	s_branch .LBB16_5
.LBB16_23:
	v_div_scale_f32 v0, null, v9, v9, v8
	s_waitcnt vmcnt(0)
	v_rcp_f32_e32 v3, v0
	v_fma_f32 v4, -v0, v3, 1.0
	v_fmac_f32_e32 v3, v4, v3
	v_div_scale_f32 v4, vcc_lo, v8, v9, v8
	v_mul_f32_e32 v5, v4, v3
	v_fma_f32 v6, -v0, v5, v4
	v_fmac_f32_e32 v5, v6, v3
	v_fma_f32 v0, -v0, v5, v4
	v_div_fmas_f32 v0, v0, v3, v5
	v_div_fixup_f32 v0, v0, v9, v8
	global_store_dword v[1:2], v0, off
.LBB16_24:
	s_endpgm
	.section	.rodata,"a",@progbits
	.p2align	6, 0x0
	.amdhsa_kernel _ZL33flash_attn_stream_k_fixup_generalILi512ELi4ELi4EEvPfPK15HIP_vector_typeIfLj2EEiiiiS1_IjLj3EES5_S5_S5_
		.amdhsa_group_segment_fixed_size 0
		.amdhsa_private_segment_fixed_size 0
		.amdhsa_kernarg_size 336
		.amdhsa_user_sgpr_count 6
		.amdhsa_user_sgpr_private_segment_buffer 1
		.amdhsa_user_sgpr_dispatch_ptr 0
		.amdhsa_user_sgpr_queue_ptr 0
		.amdhsa_user_sgpr_kernarg_segment_ptr 1
		.amdhsa_user_sgpr_dispatch_id 0
		.amdhsa_user_sgpr_flat_scratch_init 0
		.amdhsa_user_sgpr_private_segment_size 0
		.amdhsa_wavefront_size32 1
		.amdhsa_uses_dynamic_stack 0
		.amdhsa_system_sgpr_private_segment_wavefront_offset 0
		.amdhsa_system_sgpr_workgroup_id_x 1
		.amdhsa_system_sgpr_workgroup_id_y 1
		.amdhsa_system_sgpr_workgroup_id_z 1
		.amdhsa_system_sgpr_workgroup_info 0
		.amdhsa_system_vgpr_workitem_id 0
		.amdhsa_next_free_vgpr 17
		.amdhsa_next_free_sgpr 31
		.amdhsa_reserve_vcc 1
		.amdhsa_reserve_flat_scratch 0
		.amdhsa_float_round_mode_32 0
		.amdhsa_float_round_mode_16_64 0
		.amdhsa_float_denorm_mode_32 3
		.amdhsa_float_denorm_mode_16_64 3
		.amdhsa_dx10_clamp 1
		.amdhsa_ieee_mode 1
		.amdhsa_fp16_overflow 0
		.amdhsa_workgroup_processor_mode 1
		.amdhsa_memory_ordered 1
		.amdhsa_forward_progress 1
		.amdhsa_shared_vgpr_count 0
		.amdhsa_exception_fp_ieee_invalid_op 0
		.amdhsa_exception_fp_denorm_src 0
		.amdhsa_exception_fp_ieee_div_zero 0
		.amdhsa_exception_fp_ieee_overflow 0
		.amdhsa_exception_fp_ieee_underflow 0
		.amdhsa_exception_fp_ieee_inexact 0
		.amdhsa_exception_int_div_zero 0
	.end_amdhsa_kernel
	.section	.text._ZL33flash_attn_stream_k_fixup_generalILi512ELi4ELi4EEvPfPK15HIP_vector_typeIfLj2EEiiiiS1_IjLj3EES5_S5_S5_,"axG",@progbits,_ZL33flash_attn_stream_k_fixup_generalILi512ELi4ELi4EEvPfPK15HIP_vector_typeIfLj2EEiiiiS1_IjLj3EES5_S5_S5_,comdat
.Lfunc_end16:
	.size	_ZL33flash_attn_stream_k_fixup_generalILi512ELi4ELi4EEvPfPK15HIP_vector_typeIfLj2EEiiiiS1_IjLj3EES5_S5_S5_, .Lfunc_end16-_ZL33flash_attn_stream_k_fixup_generalILi512ELi4ELi4EEvPfPK15HIP_vector_typeIfLj2EEiiiiS1_IjLj3EES5_S5_S5_
                                        ; -- End function
	.set _ZL33flash_attn_stream_k_fixup_generalILi512ELi4ELi4EEvPfPK15HIP_vector_typeIfLj2EEiiiiS1_IjLj3EES5_S5_S5_.num_vgpr, 17
	.set _ZL33flash_attn_stream_k_fixup_generalILi512ELi4ELi4EEvPfPK15HIP_vector_typeIfLj2EEiiiiS1_IjLj3EES5_S5_S5_.num_agpr, 0
	.set _ZL33flash_attn_stream_k_fixup_generalILi512ELi4ELi4EEvPfPK15HIP_vector_typeIfLj2EEiiiiS1_IjLj3EES5_S5_S5_.numbered_sgpr, 31
	.set _ZL33flash_attn_stream_k_fixup_generalILi512ELi4ELi4EEvPfPK15HIP_vector_typeIfLj2EEiiiiS1_IjLj3EES5_S5_S5_.num_named_barrier, 0
	.set _ZL33flash_attn_stream_k_fixup_generalILi512ELi4ELi4EEvPfPK15HIP_vector_typeIfLj2EEiiiiS1_IjLj3EES5_S5_S5_.private_seg_size, 0
	.set _ZL33flash_attn_stream_k_fixup_generalILi512ELi4ELi4EEvPfPK15HIP_vector_typeIfLj2EEiiiiS1_IjLj3EES5_S5_S5_.uses_vcc, 1
	.set _ZL33flash_attn_stream_k_fixup_generalILi512ELi4ELi4EEvPfPK15HIP_vector_typeIfLj2EEiiiiS1_IjLj3EES5_S5_S5_.uses_flat_scratch, 0
	.set _ZL33flash_attn_stream_k_fixup_generalILi512ELi4ELi4EEvPfPK15HIP_vector_typeIfLj2EEiiiiS1_IjLj3EES5_S5_S5_.has_dyn_sized_stack, 0
	.set _ZL33flash_attn_stream_k_fixup_generalILi512ELi4ELi4EEvPfPK15HIP_vector_typeIfLj2EEiiiiS1_IjLj3EES5_S5_S5_.has_recursion, 0
	.set _ZL33flash_attn_stream_k_fixup_generalILi512ELi4ELi4EEvPfPK15HIP_vector_typeIfLj2EEiiiiS1_IjLj3EES5_S5_S5_.has_indirect_call, 0
	.section	.AMDGPU.csdata,"",@progbits
; Kernel info:
; codeLenInByte = 2944
; TotalNumSgprs: 33
; NumVgprs: 17
; ScratchSize: 0
; MemoryBound: 0
; FloatMode: 240
; IeeeMode: 1
; LDSByteSize: 0 bytes/workgroup (compile time only)
; SGPRBlocks: 0
; VGPRBlocks: 2
; NumSGPRsForWavesPerEU: 33
; NumVGPRsForWavesPerEU: 17
; Occupancy: 16
; WaveLimiterHint : 0
; COMPUTE_PGM_RSRC2:SCRATCH_EN: 0
; COMPUTE_PGM_RSRC2:USER_SGPR: 6
; COMPUTE_PGM_RSRC2:TRAP_HANDLER: 0
; COMPUTE_PGM_RSRC2:TGID_X_EN: 1
; COMPUTE_PGM_RSRC2:TGID_Y_EN: 1
; COMPUTE_PGM_RSRC2:TGID_Z_EN: 1
; COMPUTE_PGM_RSRC2:TIDIG_COMP_CNT: 0
	.section	.text._ZL15flash_attn_tileILi576ELi512ELi2ELi4ELb0EEvPKcS1_S1_S1_S1_PKiPfP15HIP_vector_typeIfLj2EEffffjfiS5_IjLj3EEiiiiiiiiiiiliiliiiiil,"axG",@progbits,_ZL15flash_attn_tileILi576ELi512ELi2ELi4ELb0EEvPKcS1_S1_S1_S1_PKiPfP15HIP_vector_typeIfLj2EEffffjfiS5_IjLj3EEiiiiiiiiiiiliiliiiiil,comdat
	.globl	_ZL15flash_attn_tileILi576ELi512ELi2ELi4ELb0EEvPKcS1_S1_S1_S1_PKiPfP15HIP_vector_typeIfLj2EEffffjfiS5_IjLj3EEiiiiiiiiiiiliiliiiiil ; -- Begin function _ZL15flash_attn_tileILi576ELi512ELi2ELi4ELb0EEvPKcS1_S1_S1_S1_PKiPfP15HIP_vector_typeIfLj2EEffffjfiS5_IjLj3EEiiiiiiiiiiiliiliiiiil
	.p2align	8
	.type	_ZL15flash_attn_tileILi576ELi512ELi2ELi4ELb0EEvPKcS1_S1_S1_S1_PKiPfP15HIP_vector_typeIfLj2EEffffjfiS5_IjLj3EEiiiiiiiiiiiliiliiiiil,@function
_ZL15flash_attn_tileILi576ELi512ELi2ELi4ELb0EEvPKcS1_S1_S1_S1_PKiPfP15HIP_vector_typeIfLj2EEffffjfiS5_IjLj3EEiiiiiiiiiiiliiliiiiil: ; @_ZL15flash_attn_tileILi576ELi512ELi2ELi4ELb0EEvPKcS1_S1_S1_S1_PKiPfP15HIP_vector_typeIfLj2EEffffjfiS5_IjLj3EEiiiiiiiiiiiliiliiiiil
; %bb.0:
	s_clause 0x1
	s_load_dwordx4 s[0:3], s[4:5], 0x5c
	s_load_dwordx2 s[30:31], s[4:5], 0x80
	s_mov_b32 s28, s7
	s_mov_b64 s[34:35], 0
	s_waitcnt lgkmcnt(0)
	s_ashr_i32 s7, s3, 31
	s_lshr_b32 s7, s7, 30
	s_add_i32 s7, s3, s7
	s_ashr_i32 s7, s7, 2
	v_cvt_f32_u32_e32 v2, s7
	s_sub_i32 s10, 0, s7
	v_rcp_iflag_f32_e32 v2, v2
	v_mul_f32_e32 v2, 0x4f7ffffe, v2
	v_cvt_u32_f32_e32 v2, v2
	v_readfirstlane_b32 s9, v2
	s_mul_i32 s10, s10, s9
	s_mul_hi_u32 s10, s9, s10
	s_add_i32 s9, s9, s10
	s_mul_hi_u32 s9, s8, s9
	s_mul_i32 s10, s9, s7
	s_add_i32 s11, s9, 1
	s_sub_i32 s10, s8, s10
	s_sub_i32 s12, s10, s7
	s_cmp_ge_u32 s10, s7
	s_cselect_b32 s9, s11, s9
	s_cselect_b32 s10, s12, s10
	s_add_i32 s11, s9, 1
	s_cmp_ge_u32 s10, s7
	s_cselect_b32 s29, s11, s9
	s_abs_i32 s7, s31
	s_lshl_b32 s8, s8, 2
	v_cvt_f32_u32_e32 v2, s7
	s_sub_i32 s10, 0, s7
	s_mul_i32 s11, s29, s3
	s_abs_i32 s12, s3
	s_sub_i32 s33, s8, s11
	v_rcp_iflag_f32_e32 v2, v2
	v_mul_f32_e32 v2, 0x4f7ffffe, v2
	v_cvt_u32_f32_e32 v2, v2
	v_readfirstlane_b32 s9, v2
	s_mul_i32 s10, s10, s9
	s_mul_hi_u32 s10, s9, s10
	s_add_i32 s9, s9, s10
	s_mul_hi_u32 s8, s12, s9
	s_xor_b32 s9, s3, s31
	s_mul_i32 s10, s8, s7
	s_ashr_i32 s9, s9, 31
	s_sub_i32 s10, s12, s10
	s_add_i32 s11, s8, 1
	s_sub_i32 s12, s10, s7
	s_cmp_ge_u32 s10, s7
	s_cselect_b32 s8, s11, s8
	s_cselect_b32 s10, s12, s10
	s_add_i32 s11, s8, 1
	s_cmp_ge_u32 s10, s7
	s_cselect_b32 s7, s11, s8
	s_xor_b32 s7, s7, s9
	s_sub_i32 s31, s7, s9
	s_clause 0x1
	s_load_dwordx16 s[8:23], s[4:5], 0x0
	s_load_dwordx2 s[36:37], s[4:5], 0xb8
	s_abs_i32 s7, s31
	v_cvt_f32_u32_e32 v2, s7
	v_rcp_iflag_f32_e32 v2, v2
	v_mul_f32_e32 v2, 0x4f7ffffe, v2
	s_waitcnt lgkmcnt(0)
	s_cmp_eq_u64 s[14:15], 0
	v_cvt_u32_f32_e32 v2, v2
	v_readfirstlane_b32 s38, v2
	s_cbranch_scc1 .LBB17_2
; %bb.1:
	s_abs_i32 s26, s36
	s_abs_i32 s27, s29
	v_cvt_f32_u32_e32 v2, s26
	s_sub_i32 s25, 0, s26
	v_rcp_iflag_f32_e32 v2, v2
	v_mul_f32_e32 v2, 0x4f7ffffe, v2
	v_cvt_u32_f32_e32 v2, v2
	v_readfirstlane_b32 s24, v2
	s_mul_i32 s25, s25, s24
	s_mul_hi_u32 s25, s24, s25
	s_add_i32 s24, s24, s25
	s_mul_hi_u32 s34, s27, s24
	s_load_dwordx2 s[24:25], s[4:5], 0xc8
	s_mul_i32 s34, s34, s26
	s_sub_i32 s27, s27, s34
	s_ashr_i32 s34, s29, 31
	s_sub_i32 s35, s27, s26
	s_cmp_ge_u32 s27, s26
	s_cselect_b32 s27, s35, s27
	s_sub_i32 s35, s27, s26
	s_cmp_ge_u32 s27, s26
	s_cselect_b32 s26, s35, s27
	s_xor_b32 s26, s26, s34
	s_sub_i32 s26, s26, s34
	s_ashr_i32 s27, s26, 31
	s_waitcnt lgkmcnt(0)
	s_mul_hi_u32 s34, s24, s26
	s_mul_i32 s27, s24, s27
	s_mul_i32 s25, s25, s26
	s_add_i32 s27, s34, s27
	s_mul_i32 s24, s24, s26
	s_add_i32 s27, s27, s25
	s_add_u32 s34, s14, s24
	s_addc_u32 s35, s15, s27
.LBB17_2:
	v_lshrrev_b32_e32 v2, 2, v1
	s_load_dwordx4 s[24:27], s[4:5], 0x70
	v_and_b32_e32 v27, 3, v1
	v_mul_u32_u24_e32 v29, 0x480, v1
	v_lshl_add_u32 v2, s6, 1, v2
	v_mul_hi_u32 v3, s0, v2
	v_add_nc_u32_e32 v3, v2, v3
	s_waitcnt lgkmcnt(0)
	s_mul_i32 s14, s29, s26
	s_mov_b32 s0, s25
	v_lshrrev_b32_e32 v3, s1, v3
	s_mul_i32 s1, s33, s25
	s_ashr_i32 s15, s14, 31
	s_add_u32 s8, s8, s14
	s_addc_u32 s9, s9, s15
	v_mul_lo_u32 v3, v3, s2
	s_ashr_i32 s14, s1, 31
	s_add_u32 s15, s8, s1
	s_addc_u32 s14, s9, s14
	s_ashr_i32 s1, s25, 31
	s_ashr_i32 s25, s24, 31
	s_lshr_b64 s[8:9], s[0:1], 2
	s_lshr_b32 s0, s1, 2
	v_sub_nc_u32_e32 v5, v2, v3
	v_mad_u64_u32 v[3:4], null, s8, v27, 0
	s_lshr_b64 s[8:9], s[24:25], 2
	s_mov_b32 s1, exec_lo
	v_mad_u64_u32 v[6:7], null, s8, v5, 0
	v_mad_u64_u32 v[8:9], null, s0, v27, v[4:5]
	s_lshr_b32 s0, s25, 2
	v_mad_u64_u32 v[9:10], null, s0, v5, v[7:8]
	v_mov_b32_e32 v4, v8
	v_lshlrev_b32_e32 v8, 4, v0
	s_load_dword s0, s[4:5], 0x40
	v_lshlrev_b64 v[3:4], 2, v[3:4]
	v_mov_b32_e32 v7, v9
	v_add_co_u32 v3, vcc_lo, s15, v3
	v_lshlrev_b64 v[6:7], 2, v[6:7]
	v_add_co_ci_u32_e64 v4, null, s14, v4, vcc_lo
	v_add_co_u32 v3, vcc_lo, v3, v6
	v_add_co_ci_u32_e64 v4, null, v4, v7, vcc_lo
	v_lshlrev_b32_e32 v6, 3, v0
	v_add_co_u32 v3, vcc_lo, v3, v8
	v_add_co_ci_u32_e64 v4, null, 0, v4, vcc_lo
	s_clause 0x3
	global_load_dwordx4 v[7:10], v[3:4], off
	global_load_dwordx4 v[11:14], v[3:4], off offset:512
	global_load_dwordx4 v[15:18], v[3:4], off offset:1024
	;; [unrolled: 1-line block ×3, first 2 shown]
	v_mad_u32_u24 v23, 0x480, v1, v6
	s_waitcnt vmcnt(3) lgkmcnt(0)
	v_fma_mixlo_f16 v7, s0, v7, 0
	v_fma_mixlo_f16 v8, s0, v8, 0
	;; [unrolled: 1-line block ×4, first 2 shown]
	s_waitcnt vmcnt(2)
	v_fma_mixlo_f16 v11, s0, v11, 0
	v_fma_mixlo_f16 v12, s0, v12, 0
	;; [unrolled: 1-line block ×4, first 2 shown]
	s_waitcnt vmcnt(1)
	v_fma_mixlo_f16 v15, s0, v15, 0
	v_fma_mixlo_f16 v16, s0, v16, 0
	s_waitcnt vmcnt(0)
	v_fma_mixlo_f16 v19, s0, v19, 0
	v_fma_mixlo_f16 v20, s0, v20, 0
	v_lshlrev_b32_e32 v8, 16, v8
	v_and_b32_e32 v7, 0xffff, v7
	v_lshlrev_b32_e32 v10, 16, v10
	v_and_b32_e32 v9, 0xffff, v9
	;; [unrolled: 2-line block ×3, first 2 shown]
	v_fma_mixlo_f16 v17, s0, v17, 0
	v_fma_mixlo_f16 v18, s0, v18, 0
	;; [unrolled: 1-line block ×4, first 2 shown]
	v_lshlrev_b32_e32 v14, 16, v14
	v_and_b32_e32 v13, 0xffff, v13
	v_lshlrev_b32_e32 v16, 16, v16
	v_and_b32_e32 v15, 0xffff, v15
	;; [unrolled: 2-line block ×3, first 2 shown]
	v_or_b32_e32 v7, v8, v7
	v_or3_b32 v8, v10, v9, 0
	v_or_b32_e32 v9, v12, v11
	v_lshlrev_b32_e32 v18, 16, v18
	v_and_b32_e32 v17, 0xffff, v17
	v_lshlrev_b32_e32 v22, 16, v22
	v_and_b32_e32 v21, 0xffff, v21
	v_or3_b32 v10, v14, v13, 0
	v_or_b32_e32 v11, v16, v15
	v_or_b32_e32 v13, v20, v19
	v_or3_b32 v7, 0, 0, v7
	v_or3_b32 v9, 0, 0, v9
	;; [unrolled: 1-line block ×6, first 2 shown]
	ds_write2_b64 v23, v[7:8], v[9:10] offset1:32
	ds_write2_b64 v23, v[11:12], v[13:14] offset0:64 offset1:96
	v_cmpx_gt_u32_e32 16, v0
	s_cbranch_execz .LBB17_4
; %bb.3:
	v_add_co_u32 v3, vcc_lo, 0x800, v3
	v_add_co_ci_u32_e64 v4, null, 0, v4, vcc_lo
	global_load_dwordx4 v[7:10], v[3:4], off
	s_waitcnt vmcnt(0)
	v_fma_mixlo_f16 v3, s0, v8, 0
	v_fma_mixlo_f16 v4, s0, v7, 0
	;; [unrolled: 1-line block ×4, first 2 shown]
	v_lshlrev_b32_e32 v3, 16, v3
	v_and_b32_e32 v4, 0xffff, v4
	v_and_b32_e32 v7, 0xffff, v7
	v_lshlrev_b32_e32 v8, 16, v8
	v_or_b32_e32 v3, v3, v4
	v_or3_b32 v4, v8, v7, 0
	v_add_nc_u32_e32 v7, v29, v6
	v_or3_b32 v3, 0, 0, v3
	ds_write_b64 v7, v[3:4] offset:1024
.LBB17_4:
	s_or_b32 exec_lo, exec_lo, s1
	s_cmp_eq_u64 s[18:19], 0
	s_waitcnt lgkmcnt(0)
	s_barrier
	buffer_gl0_inv
	s_cbranch_scc1 .LBB17_6
; %bb.5:
	s_load_dword s0, s[4:5], 0xd0
	s_mov_b32 s1, 0
	s_waitcnt lgkmcnt(0)
	s_mul_i32 s0, s0, s29
	s_add_i32 s0, s0, s6
	s_lshl_b64 s[0:1], s[0:1], 2
	s_add_u32 s0, s18, s0
	s_addc_u32 s1, s19, s1
	s_load_dword s30, s[0:1], 0x0
.LBB17_6:
	v_lshlrev_b32_e32 v28, 2, v0
	v_mbcnt_lo_u32_b32 v30, -1, 0
	s_lshl_b32 s14, s28, 6
	s_waitcnt lgkmcnt(0)
	s_cmp_lt_i32 s14, s30
	s_cbranch_scc1 .LBB17_9
; %bb.7:
	v_mbcnt_lo_u32_b32 v4, -1, 0
	v_mov_b32_e32 v3, 32
	v_xor_b32_e32 v35, 16, v4
	v_xor_b32_e32 v34, 8, v4
	;; [unrolled: 1-line block ×5, first 2 shown]
	s_cbranch_execz .LBB17_10
; %bb.8:
	v_mov_b32_e32 v55, 0
	v_mov_b32_e32 v1, 0
	;; [unrolled: 1-line block ×10, first 2 shown]
	s_branch .LBB17_13
.LBB17_9:
                                        ; implicit-def: $vgpr4
                                        ; implicit-def: $vgpr3
                                        ; implicit-def: $vgpr35
                                        ; implicit-def: $vgpr34
                                        ; implicit-def: $vgpr33
                                        ; implicit-def: $vgpr32
                                        ; implicit-def: $vgpr31
.LBB17_10:
	s_clause 0x1
	s_load_dwordx4 s[24:27], s[4:5], 0x98
	s_load_dwordx2 s[0:1], s[4:5], 0x8c
	s_sub_i32 s6, 0, s7
	s_abs_i32 s19, s33
	s_mul_i32 s6, s6, s38
	s_ashr_i32 s36, s33, 31
	s_mul_hi_u32 s6, s38, s6
	s_ashr_i32 s31, s31, 31
	s_add_i32 s38, s38, s6
	s_ashr_i32 s6, s37, 1
	s_mul_hi_u32 s37, s19, s38
	s_ashr_i32 s38, s29, 31
	s_load_dwordx2 s[8:9], s[4:5], 0xa8
	s_mul_i32 s39, s37, s7
	v_lshrrev_b32_e32 v3, 3, v0
	v_and_b32_e32 v13, 28, v28
	v_lshlrev_b32_e32 v14, 2, v28
	v_lshl_add_u32 v39, v1, 7, 0x4800
	v_add_nc_u32_e32 v43, 0x2400, v6
	v_lshl_add_u32 v3, v1, 2, v3
	s_waitcnt lgkmcnt(0)
	s_ashr_i32 s15, s26, 2
	s_ashr_i32 s18, s0, 2
	s_mul_hi_u32 s0, s24, s29
	s_mul_i32 s26, s24, s38
	s_mul_i32 s25, s25, s29
	s_add_i32 s0, s0, s26
	s_mul_i32 s24, s24, s29
	s_add_i32 s0, s0, s25
	s_add_u32 s10, s10, s24
	s_addc_u32 s0, s11, s0
	s_sub_i32 s19, s19, s39
	s_xor_b32 s11, s36, s31
	s_add_i32 s24, s37, 1
	s_sub_i32 s25, s19, s7
	s_cmp_ge_u32 s19, s7
	v_lshlrev_b32_e32 v4, 2, v13
	s_cselect_b32 s24, s24, s37
	s_cselect_b32 s19, s25, s19
	s_add_i32 s25, s24, 1
	s_cmp_ge_u32 s19, s7
	v_mul_lo_u32 v9, s18, v3
	v_mad_u32_u24 v4, 0x90, v3, v4
	v_mul_lo_u32 v3, s15, v1
	s_cselect_b32 s7, s25, s24
	s_mul_hi_u32 s19, s8, s29
	s_xor_b32 s7, s7, s11
	v_add_nc_u32_e32 v36, 0x2400, v4
	s_sub_i32 s7, s7, s11
	v_add_nc_u32_e32 v37, 0x3600, v4
	s_mul_i32 s1, s7, s1
	v_ashrrev_i32_e32 v4, 31, v3
	s_mul_i32 s24, s8, s38
	s_ashr_i32 s11, s1, 31
	s_add_u32 s10, s10, s1
	s_mul_i32 s9, s9, s29
	s_addc_u32 s11, s0, s11
	s_add_i32 s0, s19, s24
	s_mul_i32 s1, s8, s29
	v_lshl_add_u32 v1, v1, 10, v14
	v_lshlrev_b64 v[7:8], 2, v[3:4]
	s_add_i32 s0, s0, s9
	s_mul_i32 s7, s7, s27
	s_add_u32 s1, s12, s1
	s_addc_u32 s0, s13, s0
	s_ashr_i32 s8, s7, 31
	v_lshl_add_u32 v11, s18, 5, v9
	s_add_u32 s1, s1, s7
	v_mad_u64_u32 v[3:4], null, v5, s6, v[0:1]
	s_addc_u32 s0, s0, s8
	v_add_co_u32 v4, vcc_lo, s1, v7
	v_ashrrev_i32_e32 v10, 31, v9
	v_ashrrev_i32_e32 v12, 31, v11
	v_add_co_ci_u32_e64 v5, null, s0, v8, vcc_lo
	v_add_co_u32 v44, vcc_lo, v4, v14
	s_movk_i32 s7, 0x2400
	v_add_co_ci_u32_e64 v45, null, 0, v5, vcc_lo
	v_lshlrev_b64 v[4:5], 2, v[9:10]
	v_lshlrev_b64 v[6:7], 2, v[11:12]
	v_mov_b32_e32 v51, 0
	v_mad_u32_u24 v38, 0x90, v0, s7
	v_lshl_add_u32 v40, v0, 1, v39
	v_add_nc_u32_e32 v41, 0x2400, v1
	v_add_nc_u32_e32 v42, 0x2600, v1
	v_mov_b32_e32 v8, 0xfeffffff
	v_lshlrev_b32_e32 v46, 2, v13
	v_xor_b32_e32 v35, 16, v30
	v_xor_b32_e32 v34, 8, v30
	;; [unrolled: 1-line block ×5, first 2 shown]
	v_mov_b32_e32 v47, 0x10001
	v_add_nc_u32_e32 v48, 0x800, v43
	v_add_nc_u32_e32 v49, 0x1000, v43
	;; [unrolled: 1-line block ×3, first 2 shown]
	v_mov_b32_e32 v52, 0
	v_mov_b32_e32 v54, 0
	;; [unrolled: 1-line block ×8, first 2 shown]
	s_add_u32 s6, s4, 0xd0
	s_addc_u32 s7, s5, 0
.LBB17_11:                              ; =>This Inner Loop Header: Depth=1
	v_cmp_gt_i32_e32 vcc_lo, 32, v35
	s_mul_hi_i32 s1, s14, s18
	s_mul_i32 s0, s14, s18
	v_mov_b32_e32 v59, v8
	s_lshl_b64 s[0:1], s[0:1], 2
	v_cndmask_b32_e32 v10, v30, v35, vcc_lo
	v_cmp_gt_i32_e32 vcc_lo, 32, v34
	s_add_u32 s0, s10, s0
	s_addc_u32 s1, s11, s1
	s_or_b32 s13, s14, 8
	v_lshlrev_b32_e32 v66, 2, v10
	v_cndmask_b32_e32 v11, v30, v34, vcc_lo
	v_cmp_gt_i32_e32 vcc_lo, 32, v33
	s_or_b32 s19, s14, 16
	v_add_nc_u32_e32 v8, s14, v3
	s_or_b32 s24, s14, 24
	s_mul_hi_i32 s27, s19, s15
	v_cndmask_b32_e32 v12, v30, v33, vcc_lo
	v_cmp_gt_i32_e32 vcc_lo, 32, v32
	s_mul_i32 s26, s19, s15
	s_or_b32 s25, s14, 32
	s_mul_hi_i32 s37, s24, s15
	s_mul_i32 s36, s24, s15
	v_cndmask_b32_e32 v13, v30, v32, vcc_lo
	v_cmp_gt_i32_e32 vcc_lo, 32, v31
	s_lshl_b64 s[26:27], s[26:27], 2
	s_or_b32 s31, s14, 40
	s_mul_hi_i32 s39, s25, s15
	s_mul_i32 s38, s25, s15
	v_cndmask_b32_e32 v14, v30, v31, vcc_lo
	v_add_co_u32 v10, vcc_lo, s0, v6
	v_add_co_u32 v24, s0, s0, v4
	v_add_co_ci_u32_e64 v26, null, s1, v5, s0
	v_add_co_ci_u32_e64 v67, null, s1, v7, vcc_lo
	s_mul_hi_i32 s1, s13, s15
	s_mul_i32 s0, s13, s15
	s_lshl_b64 s[36:37], s[36:37], 2
	s_lshl_b64 s[0:1], s[0:1], 2
	v_ashrrev_i32_e32 v9, 31, v8
	v_add_co_u32 v17, s0, v44, s0
	v_add_co_ci_u32_e64 v18, null, s1, v45, s0
	v_add_co_u32 v15, s0, v44, s26
	s_mul_hi_i32 s9, s14, s15
	s_mul_i32 s8, s14, s15
	v_lshlrev_b32_e32 v63, 2, v13
	s_mul_hi_i32 s25, s31, s15
	s_mul_i32 s24, s31, s15
	s_lshl_b64 s[38:39], s[38:39], 2
	v_add_co_ci_u32_e64 v16, null, s27, v45, s0
	v_add_co_u32 v13, s0, v44, s36
	v_lshlrev_b32_e32 v65, 2, v11
	v_lshlrev_b32_e32 v62, 2, v14
	s_lshl_b64 s[8:9], s[8:9], 2
	s_lshl_b64 s[24:25], s[24:25], 2
	v_add_co_ci_u32_e64 v14, null, s37, v45, s0
	v_add_co_u32 v11, s0, v44, s38
	v_lshlrev_b32_e32 v64, 2, v12
	v_add_co_u32 v19, vcc_lo, v44, s8
	v_lshlrev_b64 v[21:22], 1, v[8:9]
	v_add_co_ci_u32_e64 v12, null, s39, v45, s0
	v_add_co_u32 v9, s0, v44, s24
	v_add_co_ci_u32_e64 v20, null, s9, v45, vcc_lo
	v_add_co_u32 v23, vcc_lo, v10, v46
	v_add_co_ci_u32_e64 v10, null, s25, v45, s0
	v_add_co_u32 v25, s0, v24, v46
	v_add_co_ci_u32_e64 v26, null, 0, v26, s0
	v_add_co_ci_u32_e64 v24, null, 0, v67, vcc_lo
	s_clause 0x1
	global_load_dwordx4 v[67:70], v[25:26], off
	global_load_dwordx4 v[71:74], v[23:24], off
	v_mov_b32_e32 v60, 0
	v_mov_b32_e32 v61, 0
	v_add_co_u32 v21, vcc_lo, s34, v21
	v_add_co_ci_u32_e64 v22, null, s35, v22, vcc_lo
	s_or_b32 s12, s14, 48
	s_waitcnt vmcnt(1)
	ds_write_b128 v36, v[67:70]
	s_waitcnt vmcnt(0)
	ds_write_b128 v37, v[71:74]
	s_waitcnt lgkmcnt(0)
	s_barrier
	buffer_gl0_inv
	ds_read_b128 v[67:70], v38
	ds_read_b128 v[71:74], v29
	ds_read_b128 v[75:78], v38 offset:4608
	s_waitcnt lgkmcnt(1)
	;;#ASMSTART
	v_dot2_f32_f16 v60, v67, v71, v60
	;;#ASMEND
	;;#ASMSTART
	v_dot2_f32_f16 v60, v68, v72, v60
	;;#ASMEND
	;;#ASMSTART
	v_dot2_f32_f16 v60, v69, v73, v60
	;;#ASMEND
	;;#ASMSTART
	v_dot2_f32_f16 v60, v70, v74, v60
	;;#ASMEND
	s_waitcnt lgkmcnt(0)
	;;#ASMSTART
	v_dot2_f32_f16 v61, v75, v71, v61
	;;#ASMEND
	;;#ASMSTART
	v_dot2_f32_f16 v61, v76, v72, v61
	;;#ASMEND
	;;#ASMSTART
	v_dot2_f32_f16 v61, v77, v73, v61
	;;#ASMEND
	;;#ASMSTART
	v_dot2_f32_f16 v61, v78, v74, v61
	;;#ASMEND
	ds_read_b128 v[67:70], v38 offset:16
	ds_read_b128 v[71:74], v29 offset:16
	ds_read_b128 v[75:78], v38 offset:4624
	s_waitcnt lgkmcnt(1)
	;;#ASMSTART
	v_dot2_f32_f16 v60, v67, v71, v60
	;;#ASMEND
	;;#ASMSTART
	v_dot2_f32_f16 v60, v68, v72, v60
	;;#ASMEND
	;;#ASMSTART
	v_dot2_f32_f16 v60, v69, v73, v60
	;;#ASMEND
	;;#ASMSTART
	v_dot2_f32_f16 v60, v70, v74, v60
	;;#ASMEND
	s_waitcnt lgkmcnt(0)
	;;#ASMSTART
	v_dot2_f32_f16 v61, v75, v71, v61
	;;#ASMEND
	;;#ASMSTART
	v_dot2_f32_f16 v61, v76, v72, v61
	;;#ASMEND
	;;#ASMSTART
	v_dot2_f32_f16 v61, v77, v73, v61
	;;#ASMEND
	;;#ASMSTART
	v_dot2_f32_f16 v61, v78, v74, v61
	;;#ASMEND
	ds_read_b128 v[67:70], v38 offset:32
	ds_read_b128 v[71:74], v29 offset:32
	;; [unrolled: 29-line block ×7, first 2 shown]
	ds_read_b128 v[75:78], v38 offset:4720
	s_waitcnt lgkmcnt(1)
	;;#ASMSTART
	v_dot2_f32_f16 v60, v67, v71, v60
	;;#ASMEND
	;;#ASMSTART
	v_dot2_f32_f16 v60, v68, v72, v60
	;;#ASMEND
	;; [unrolled: 3-line block ×4, first 2 shown]
	s_waitcnt lgkmcnt(0)
	;;#ASMSTART
	v_dot2_f32_f16 v61, v75, v71, v61
	;;#ASMEND
	;;#ASMSTART
	v_dot2_f32_f16 v61, v76, v72, v61
	;;#ASMEND
	;; [unrolled: 3-line block ×4, first 2 shown]
	s_barrier
	buffer_gl0_inv
	s_clause 0x1
	global_load_dwordx4 v[67:70], v[25:26], off offset:128
	global_load_dwordx4 v[71:74], v[23:24], off offset:128
	s_mul_hi_i32 s9, s12, s15
	s_mul_i32 s8, s12, s15
	s_waitcnt vmcnt(1)
	ds_write_b128 v36, v[67:70]
	s_waitcnt vmcnt(0)
	ds_write_b128 v37, v[71:74]
	s_waitcnt lgkmcnt(0)
	s_barrier
	buffer_gl0_inv
	ds_read_b128 v[67:70], v38
	ds_read_b128 v[71:74], v29 offset:128
	ds_read_b128 v[75:78], v38 offset:4608
	s_waitcnt lgkmcnt(1)
	;;#ASMSTART
	v_dot2_f32_f16 v60, v67, v71, v60
	;;#ASMEND
	;;#ASMSTART
	v_dot2_f32_f16 v60, v68, v72, v60
	;;#ASMEND
	;;#ASMSTART
	v_dot2_f32_f16 v60, v69, v73, v60
	;;#ASMEND
	;;#ASMSTART
	v_dot2_f32_f16 v60, v70, v74, v60
	;;#ASMEND
	s_waitcnt lgkmcnt(0)
	;;#ASMSTART
	v_dot2_f32_f16 v61, v75, v71, v61
	;;#ASMEND
	;;#ASMSTART
	v_dot2_f32_f16 v61, v76, v72, v61
	;;#ASMEND
	;;#ASMSTART
	v_dot2_f32_f16 v61, v77, v73, v61
	;;#ASMEND
	;;#ASMSTART
	v_dot2_f32_f16 v61, v78, v74, v61
	;;#ASMEND
	ds_read_b128 v[67:70], v38 offset:16
	ds_read_b128 v[71:74], v29 offset:144
	ds_read_b128 v[75:78], v38 offset:4624
	s_waitcnt lgkmcnt(1)
	;;#ASMSTART
	v_dot2_f32_f16 v60, v67, v71, v60
	;;#ASMEND
	;;#ASMSTART
	v_dot2_f32_f16 v60, v68, v72, v60
	;;#ASMEND
	;;#ASMSTART
	v_dot2_f32_f16 v60, v69, v73, v60
	;;#ASMEND
	;;#ASMSTART
	v_dot2_f32_f16 v60, v70, v74, v60
	;;#ASMEND
	s_waitcnt lgkmcnt(0)
	;;#ASMSTART
	v_dot2_f32_f16 v61, v75, v71, v61
	;;#ASMEND
	;;#ASMSTART
	v_dot2_f32_f16 v61, v76, v72, v61
	;;#ASMEND
	;;#ASMSTART
	v_dot2_f32_f16 v61, v77, v73, v61
	;;#ASMEND
	;;#ASMSTART
	v_dot2_f32_f16 v61, v78, v74, v61
	;;#ASMEND
	ds_read_b128 v[67:70], v38 offset:32
	;; [unrolled: 29-line block ×7, first 2 shown]
	ds_read_b128 v[71:74], v29 offset:240
	ds_read_b128 v[75:78], v38 offset:4720
	s_waitcnt lgkmcnt(1)
	;;#ASMSTART
	v_dot2_f32_f16 v60, v67, v71, v60
	;;#ASMEND
	;;#ASMSTART
	v_dot2_f32_f16 v60, v68, v72, v60
	;;#ASMEND
	;; [unrolled: 3-line block ×4, first 2 shown]
	s_waitcnt lgkmcnt(0)
	;;#ASMSTART
	v_dot2_f32_f16 v61, v75, v71, v61
	;;#ASMEND
	;;#ASMSTART
	v_dot2_f32_f16 v61, v76, v72, v61
	;;#ASMEND
	;; [unrolled: 3-line block ×4, first 2 shown]
	s_barrier
	buffer_gl0_inv
	s_clause 0x1
	global_load_dwordx4 v[67:70], v[25:26], off offset:256
	global_load_dwordx4 v[71:74], v[23:24], off offset:256
	s_waitcnt vmcnt(1)
	ds_write_b128 v36, v[67:70]
	s_waitcnt vmcnt(0)
	ds_write_b128 v37, v[71:74]
	s_waitcnt lgkmcnt(0)
	s_barrier
	buffer_gl0_inv
	ds_read_b128 v[67:70], v38
	ds_read_b128 v[71:74], v29 offset:256
	ds_read_b128 v[75:78], v38 offset:4608
	s_waitcnt lgkmcnt(1)
	;;#ASMSTART
	v_dot2_f32_f16 v60, v67, v71, v60
	;;#ASMEND
	;;#ASMSTART
	v_dot2_f32_f16 v60, v68, v72, v60
	;;#ASMEND
	;;#ASMSTART
	v_dot2_f32_f16 v60, v69, v73, v60
	;;#ASMEND
	;;#ASMSTART
	v_dot2_f32_f16 v60, v70, v74, v60
	;;#ASMEND
	s_waitcnt lgkmcnt(0)
	;;#ASMSTART
	v_dot2_f32_f16 v61, v75, v71, v61
	;;#ASMEND
	;;#ASMSTART
	v_dot2_f32_f16 v61, v76, v72, v61
	;;#ASMEND
	;;#ASMSTART
	v_dot2_f32_f16 v61, v77, v73, v61
	;;#ASMEND
	;;#ASMSTART
	v_dot2_f32_f16 v61, v78, v74, v61
	;;#ASMEND
	ds_read_b128 v[67:70], v38 offset:16
	ds_read_b128 v[71:74], v29 offset:272
	ds_read_b128 v[75:78], v38 offset:4624
	s_waitcnt lgkmcnt(1)
	;;#ASMSTART
	v_dot2_f32_f16 v60, v67, v71, v60
	;;#ASMEND
	;;#ASMSTART
	v_dot2_f32_f16 v60, v68, v72, v60
	;;#ASMEND
	;;#ASMSTART
	v_dot2_f32_f16 v60, v69, v73, v60
	;;#ASMEND
	;;#ASMSTART
	v_dot2_f32_f16 v60, v70, v74, v60
	;;#ASMEND
	s_waitcnt lgkmcnt(0)
	;;#ASMSTART
	v_dot2_f32_f16 v61, v75, v71, v61
	;;#ASMEND
	;;#ASMSTART
	v_dot2_f32_f16 v61, v76, v72, v61
	;;#ASMEND
	;;#ASMSTART
	v_dot2_f32_f16 v61, v77, v73, v61
	;;#ASMEND
	;;#ASMSTART
	v_dot2_f32_f16 v61, v78, v74, v61
	;;#ASMEND
	ds_read_b128 v[67:70], v38 offset:32
	;; [unrolled: 29-line block ×7, first 2 shown]
	ds_read_b128 v[71:74], v29 offset:368
	ds_read_b128 v[75:78], v38 offset:4720
	s_waitcnt lgkmcnt(1)
	;;#ASMSTART
	v_dot2_f32_f16 v60, v67, v71, v60
	;;#ASMEND
	;;#ASMSTART
	v_dot2_f32_f16 v60, v68, v72, v60
	;;#ASMEND
	;; [unrolled: 3-line block ×4, first 2 shown]
	s_waitcnt lgkmcnt(0)
	;;#ASMSTART
	v_dot2_f32_f16 v61, v75, v71, v61
	;;#ASMEND
	;;#ASMSTART
	v_dot2_f32_f16 v61, v76, v72, v61
	;;#ASMEND
	;; [unrolled: 3-line block ×4, first 2 shown]
	s_barrier
	buffer_gl0_inv
	s_clause 0x1
	global_load_dwordx4 v[67:70], v[25:26], off offset:384
	global_load_dwordx4 v[71:74], v[23:24], off offset:384
	s_waitcnt vmcnt(1)
	ds_write_b128 v36, v[67:70]
	s_waitcnt vmcnt(0)
	ds_write_b128 v37, v[71:74]
	s_waitcnt lgkmcnt(0)
	s_barrier
	buffer_gl0_inv
	ds_read_b128 v[67:70], v38
	ds_read_b128 v[71:74], v29 offset:384
	ds_read_b128 v[75:78], v38 offset:4608
	s_waitcnt lgkmcnt(1)
	;;#ASMSTART
	v_dot2_f32_f16 v60, v67, v71, v60
	;;#ASMEND
	;;#ASMSTART
	v_dot2_f32_f16 v60, v68, v72, v60
	;;#ASMEND
	;;#ASMSTART
	v_dot2_f32_f16 v60, v69, v73, v60
	;;#ASMEND
	;;#ASMSTART
	v_dot2_f32_f16 v60, v70, v74, v60
	;;#ASMEND
	s_waitcnt lgkmcnt(0)
	;;#ASMSTART
	v_dot2_f32_f16 v61, v75, v71, v61
	;;#ASMEND
	;;#ASMSTART
	v_dot2_f32_f16 v61, v76, v72, v61
	;;#ASMEND
	;;#ASMSTART
	v_dot2_f32_f16 v61, v77, v73, v61
	;;#ASMEND
	;;#ASMSTART
	v_dot2_f32_f16 v61, v78, v74, v61
	;;#ASMEND
	ds_read_b128 v[67:70], v38 offset:16
	ds_read_b128 v[71:74], v29 offset:400
	ds_read_b128 v[75:78], v38 offset:4624
	s_waitcnt lgkmcnt(1)
	;;#ASMSTART
	v_dot2_f32_f16 v60, v67, v71, v60
	;;#ASMEND
	;;#ASMSTART
	v_dot2_f32_f16 v60, v68, v72, v60
	;;#ASMEND
	;;#ASMSTART
	v_dot2_f32_f16 v60, v69, v73, v60
	;;#ASMEND
	;;#ASMSTART
	v_dot2_f32_f16 v60, v70, v74, v60
	;;#ASMEND
	s_waitcnt lgkmcnt(0)
	;;#ASMSTART
	v_dot2_f32_f16 v61, v75, v71, v61
	;;#ASMEND
	;;#ASMSTART
	v_dot2_f32_f16 v61, v76, v72, v61
	;;#ASMEND
	;;#ASMSTART
	v_dot2_f32_f16 v61, v77, v73, v61
	;;#ASMEND
	;;#ASMSTART
	v_dot2_f32_f16 v61, v78, v74, v61
	;;#ASMEND
	ds_read_b128 v[67:70], v38 offset:32
	;; [unrolled: 29-line block ×7, first 2 shown]
	ds_read_b128 v[71:74], v29 offset:496
	ds_read_b128 v[75:78], v38 offset:4720
	s_waitcnt lgkmcnt(1)
	;;#ASMSTART
	v_dot2_f32_f16 v60, v67, v71, v60
	;;#ASMEND
	;;#ASMSTART
	v_dot2_f32_f16 v60, v68, v72, v60
	;;#ASMEND
	;;#ASMSTART
	v_dot2_f32_f16 v60, v69, v73, v60
	;;#ASMEND
	;;#ASMSTART
	v_dot2_f32_f16 v60, v70, v74, v60
	;;#ASMEND
	s_waitcnt lgkmcnt(0)
	;;#ASMSTART
	v_dot2_f32_f16 v61, v75, v71, v61
	;;#ASMEND
	;;#ASMSTART
	v_dot2_f32_f16 v61, v76, v72, v61
	;;#ASMEND
	;; [unrolled: 3-line block ×4, first 2 shown]
	s_barrier
	buffer_gl0_inv
	s_clause 0x1
	global_load_dwordx4 v[67:70], v[25:26], off offset:512
	global_load_dwordx4 v[71:74], v[23:24], off offset:512
	s_waitcnt vmcnt(1)
	ds_write_b128 v36, v[67:70]
	s_waitcnt vmcnt(0)
	ds_write_b128 v37, v[71:74]
	s_waitcnt lgkmcnt(0)
	s_barrier
	buffer_gl0_inv
	ds_read_b128 v[67:70], v38
	ds_read_b128 v[71:74], v29 offset:512
	ds_read_b128 v[75:78], v38 offset:4608
	s_waitcnt lgkmcnt(1)
	;;#ASMSTART
	v_dot2_f32_f16 v60, v67, v71, v60
	;;#ASMEND
	;;#ASMSTART
	v_dot2_f32_f16 v60, v68, v72, v60
	;;#ASMEND
	;;#ASMSTART
	v_dot2_f32_f16 v60, v69, v73, v60
	;;#ASMEND
	;;#ASMSTART
	v_dot2_f32_f16 v60, v70, v74, v60
	;;#ASMEND
	s_waitcnt lgkmcnt(0)
	;;#ASMSTART
	v_dot2_f32_f16 v61, v75, v71, v61
	;;#ASMEND
	;;#ASMSTART
	v_dot2_f32_f16 v61, v76, v72, v61
	;;#ASMEND
	;;#ASMSTART
	v_dot2_f32_f16 v61, v77, v73, v61
	;;#ASMEND
	;;#ASMSTART
	v_dot2_f32_f16 v61, v78, v74, v61
	;;#ASMEND
	ds_read_b128 v[67:70], v38 offset:16
	ds_read_b128 v[71:74], v29 offset:528
	ds_read_b128 v[75:78], v38 offset:4624
	s_waitcnt lgkmcnt(1)
	;;#ASMSTART
	v_dot2_f32_f16 v60, v67, v71, v60
	;;#ASMEND
	;;#ASMSTART
	v_dot2_f32_f16 v60, v68, v72, v60
	;;#ASMEND
	;;#ASMSTART
	v_dot2_f32_f16 v60, v69, v73, v60
	;;#ASMEND
	;;#ASMSTART
	v_dot2_f32_f16 v60, v70, v74, v60
	;;#ASMEND
	s_waitcnt lgkmcnt(0)
	;;#ASMSTART
	v_dot2_f32_f16 v61, v75, v71, v61
	;;#ASMEND
	;;#ASMSTART
	v_dot2_f32_f16 v61, v76, v72, v61
	;;#ASMEND
	;;#ASMSTART
	v_dot2_f32_f16 v61, v77, v73, v61
	;;#ASMEND
	;;#ASMSTART
	v_dot2_f32_f16 v61, v78, v74, v61
	;;#ASMEND
	ds_read_b128 v[67:70], v38 offset:32
	;; [unrolled: 29-line block ×7, first 2 shown]
	ds_read_b128 v[71:74], v29 offset:624
	ds_read_b128 v[75:78], v38 offset:4720
	s_waitcnt lgkmcnt(1)
	;;#ASMSTART
	v_dot2_f32_f16 v60, v67, v71, v60
	;;#ASMEND
	;;#ASMSTART
	v_dot2_f32_f16 v60, v68, v72, v60
	;;#ASMEND
	;; [unrolled: 3-line block ×4, first 2 shown]
	s_waitcnt lgkmcnt(0)
	;;#ASMSTART
	v_dot2_f32_f16 v61, v75, v71, v61
	;;#ASMEND
	;;#ASMSTART
	v_dot2_f32_f16 v61, v76, v72, v61
	;;#ASMEND
	;; [unrolled: 3-line block ×4, first 2 shown]
	s_barrier
	buffer_gl0_inv
	s_clause 0x1
	global_load_dwordx4 v[67:70], v[25:26], off offset:640
	global_load_dwordx4 v[71:74], v[23:24], off offset:640
	s_waitcnt vmcnt(1)
	ds_write_b128 v36, v[67:70]
	s_waitcnt vmcnt(0)
	ds_write_b128 v37, v[71:74]
	s_waitcnt lgkmcnt(0)
	s_barrier
	buffer_gl0_inv
	ds_read_b128 v[67:70], v38
	ds_read_b128 v[71:74], v29 offset:640
	ds_read_b128 v[75:78], v38 offset:4608
	s_waitcnt lgkmcnt(1)
	;;#ASMSTART
	v_dot2_f32_f16 v60, v67, v71, v60
	;;#ASMEND
	;;#ASMSTART
	v_dot2_f32_f16 v60, v68, v72, v60
	;;#ASMEND
	;;#ASMSTART
	v_dot2_f32_f16 v60, v69, v73, v60
	;;#ASMEND
	;;#ASMSTART
	v_dot2_f32_f16 v60, v70, v74, v60
	;;#ASMEND
	s_waitcnt lgkmcnt(0)
	;;#ASMSTART
	v_dot2_f32_f16 v61, v75, v71, v61
	;;#ASMEND
	;;#ASMSTART
	v_dot2_f32_f16 v61, v76, v72, v61
	;;#ASMEND
	;;#ASMSTART
	v_dot2_f32_f16 v61, v77, v73, v61
	;;#ASMEND
	;;#ASMSTART
	v_dot2_f32_f16 v61, v78, v74, v61
	;;#ASMEND
	ds_read_b128 v[67:70], v38 offset:16
	ds_read_b128 v[71:74], v29 offset:656
	ds_read_b128 v[75:78], v38 offset:4624
	s_waitcnt lgkmcnt(1)
	;;#ASMSTART
	v_dot2_f32_f16 v60, v67, v71, v60
	;;#ASMEND
	;;#ASMSTART
	v_dot2_f32_f16 v60, v68, v72, v60
	;;#ASMEND
	;;#ASMSTART
	v_dot2_f32_f16 v60, v69, v73, v60
	;;#ASMEND
	;;#ASMSTART
	v_dot2_f32_f16 v60, v70, v74, v60
	;;#ASMEND
	s_waitcnt lgkmcnt(0)
	;;#ASMSTART
	v_dot2_f32_f16 v61, v75, v71, v61
	;;#ASMEND
	;;#ASMSTART
	v_dot2_f32_f16 v61, v76, v72, v61
	;;#ASMEND
	;;#ASMSTART
	v_dot2_f32_f16 v61, v77, v73, v61
	;;#ASMEND
	;;#ASMSTART
	v_dot2_f32_f16 v61, v78, v74, v61
	;;#ASMEND
	ds_read_b128 v[67:70], v38 offset:32
	;; [unrolled: 29-line block ×7, first 2 shown]
	ds_read_b128 v[71:74], v29 offset:752
	ds_read_b128 v[75:78], v38 offset:4720
	s_waitcnt lgkmcnt(1)
	;;#ASMSTART
	v_dot2_f32_f16 v60, v67, v71, v60
	;;#ASMEND
	;;#ASMSTART
	v_dot2_f32_f16 v60, v68, v72, v60
	;;#ASMEND
	;; [unrolled: 3-line block ×4, first 2 shown]
	s_waitcnt lgkmcnt(0)
	;;#ASMSTART
	v_dot2_f32_f16 v61, v75, v71, v61
	;;#ASMEND
	;;#ASMSTART
	v_dot2_f32_f16 v61, v76, v72, v61
	;;#ASMEND
	;; [unrolled: 3-line block ×4, first 2 shown]
	s_barrier
	buffer_gl0_inv
	s_clause 0x1
	global_load_dwordx4 v[67:70], v[25:26], off offset:768
	global_load_dwordx4 v[71:74], v[23:24], off offset:768
	s_waitcnt vmcnt(1)
	ds_write_b128 v36, v[67:70]
	s_waitcnt vmcnt(0)
	ds_write_b128 v37, v[71:74]
	s_waitcnt lgkmcnt(0)
	s_barrier
	buffer_gl0_inv
	ds_read_b128 v[67:70], v38
	ds_read_b128 v[71:74], v29 offset:768
	ds_read_b128 v[75:78], v38 offset:4608
	s_waitcnt lgkmcnt(1)
	;;#ASMSTART
	v_dot2_f32_f16 v60, v67, v71, v60
	;;#ASMEND
	;;#ASMSTART
	v_dot2_f32_f16 v60, v68, v72, v60
	;;#ASMEND
	;;#ASMSTART
	v_dot2_f32_f16 v60, v69, v73, v60
	;;#ASMEND
	;;#ASMSTART
	v_dot2_f32_f16 v60, v70, v74, v60
	;;#ASMEND
	s_waitcnt lgkmcnt(0)
	;;#ASMSTART
	v_dot2_f32_f16 v61, v75, v71, v61
	;;#ASMEND
	;;#ASMSTART
	v_dot2_f32_f16 v61, v76, v72, v61
	;;#ASMEND
	;;#ASMSTART
	v_dot2_f32_f16 v61, v77, v73, v61
	;;#ASMEND
	;;#ASMSTART
	v_dot2_f32_f16 v61, v78, v74, v61
	;;#ASMEND
	ds_read_b128 v[67:70], v38 offset:16
	ds_read_b128 v[71:74], v29 offset:784
	ds_read_b128 v[75:78], v38 offset:4624
	s_waitcnt lgkmcnt(1)
	;;#ASMSTART
	v_dot2_f32_f16 v60, v67, v71, v60
	;;#ASMEND
	;;#ASMSTART
	v_dot2_f32_f16 v60, v68, v72, v60
	;;#ASMEND
	;;#ASMSTART
	v_dot2_f32_f16 v60, v69, v73, v60
	;;#ASMEND
	;;#ASMSTART
	v_dot2_f32_f16 v60, v70, v74, v60
	;;#ASMEND
	s_waitcnt lgkmcnt(0)
	;;#ASMSTART
	v_dot2_f32_f16 v61, v75, v71, v61
	;;#ASMEND
	;;#ASMSTART
	v_dot2_f32_f16 v61, v76, v72, v61
	;;#ASMEND
	;;#ASMSTART
	v_dot2_f32_f16 v61, v77, v73, v61
	;;#ASMEND
	;;#ASMSTART
	v_dot2_f32_f16 v61, v78, v74, v61
	;;#ASMEND
	ds_read_b128 v[67:70], v38 offset:32
	;; [unrolled: 29-line block ×7, first 2 shown]
	ds_read_b128 v[71:74], v29 offset:880
	ds_read_b128 v[75:78], v38 offset:4720
	s_waitcnt lgkmcnt(1)
	;;#ASMSTART
	v_dot2_f32_f16 v60, v67, v71, v60
	;;#ASMEND
	;;#ASMSTART
	v_dot2_f32_f16 v60, v68, v72, v60
	;;#ASMEND
	;; [unrolled: 3-line block ×4, first 2 shown]
	s_waitcnt lgkmcnt(0)
	;;#ASMSTART
	v_dot2_f32_f16 v61, v75, v71, v61
	;;#ASMEND
	;;#ASMSTART
	v_dot2_f32_f16 v61, v76, v72, v61
	;;#ASMEND
	;; [unrolled: 3-line block ×4, first 2 shown]
	s_barrier
	buffer_gl0_inv
	s_clause 0x1
	global_load_dwordx4 v[67:70], v[25:26], off offset:896
	global_load_dwordx4 v[71:74], v[23:24], off offset:896
	s_waitcnt vmcnt(1)
	ds_write_b128 v36, v[67:70]
	s_waitcnt vmcnt(0)
	ds_write_b128 v37, v[71:74]
	s_waitcnt lgkmcnt(0)
	s_barrier
	buffer_gl0_inv
	ds_read_b128 v[67:70], v38
	ds_read_b128 v[71:74], v29 offset:896
	ds_read_b128 v[75:78], v38 offset:4608
	s_waitcnt lgkmcnt(1)
	;;#ASMSTART
	v_dot2_f32_f16 v60, v67, v71, v60
	;;#ASMEND
	;;#ASMSTART
	v_dot2_f32_f16 v60, v68, v72, v60
	;;#ASMEND
	;;#ASMSTART
	v_dot2_f32_f16 v60, v69, v73, v60
	;;#ASMEND
	;;#ASMSTART
	v_dot2_f32_f16 v60, v70, v74, v60
	;;#ASMEND
	s_waitcnt lgkmcnt(0)
	;;#ASMSTART
	v_dot2_f32_f16 v61, v75, v71, v61
	;;#ASMEND
	;;#ASMSTART
	v_dot2_f32_f16 v61, v76, v72, v61
	;;#ASMEND
	;;#ASMSTART
	v_dot2_f32_f16 v61, v77, v73, v61
	;;#ASMEND
	;;#ASMSTART
	v_dot2_f32_f16 v61, v78, v74, v61
	;;#ASMEND
	ds_read_b128 v[67:70], v38 offset:16
	ds_read_b128 v[71:74], v29 offset:912
	ds_read_b128 v[75:78], v38 offset:4624
	s_waitcnt lgkmcnt(1)
	;;#ASMSTART
	v_dot2_f32_f16 v60, v67, v71, v60
	;;#ASMEND
	;;#ASMSTART
	v_dot2_f32_f16 v60, v68, v72, v60
	;;#ASMEND
	;;#ASMSTART
	v_dot2_f32_f16 v60, v69, v73, v60
	;;#ASMEND
	;;#ASMSTART
	v_dot2_f32_f16 v60, v70, v74, v60
	;;#ASMEND
	s_waitcnt lgkmcnt(0)
	;;#ASMSTART
	v_dot2_f32_f16 v61, v75, v71, v61
	;;#ASMEND
	;;#ASMSTART
	v_dot2_f32_f16 v61, v76, v72, v61
	;;#ASMEND
	;;#ASMSTART
	v_dot2_f32_f16 v61, v77, v73, v61
	;;#ASMEND
	;;#ASMSTART
	v_dot2_f32_f16 v61, v78, v74, v61
	;;#ASMEND
	ds_read_b128 v[67:70], v38 offset:32
	;; [unrolled: 29-line block ×7, first 2 shown]
	ds_read_b128 v[71:74], v29 offset:1008
	ds_read_b128 v[75:78], v38 offset:4720
	s_waitcnt lgkmcnt(1)
	;;#ASMSTART
	v_dot2_f32_f16 v60, v67, v71, v60
	;;#ASMEND
	;;#ASMSTART
	v_dot2_f32_f16 v60, v68, v72, v60
	;;#ASMEND
	;; [unrolled: 3-line block ×4, first 2 shown]
	s_waitcnt lgkmcnt(0)
	;;#ASMSTART
	v_dot2_f32_f16 v61, v75, v71, v61
	;;#ASMEND
	;;#ASMSTART
	v_dot2_f32_f16 v61, v76, v72, v61
	;;#ASMEND
	;; [unrolled: 3-line block ×4, first 2 shown]
	s_barrier
	buffer_gl0_inv
	s_clause 0x1
	global_load_dwordx4 v[67:70], v[25:26], off offset:1024
	global_load_dwordx4 v[23:26], v[23:24], off offset:1024
	s_waitcnt vmcnt(1)
	ds_write_b128 v36, v[67:70]
	s_waitcnt vmcnt(0)
	ds_write_b128 v37, v[23:26]
	s_waitcnt lgkmcnt(0)
	s_barrier
	buffer_gl0_inv
	ds_read_b128 v[23:26], v38
	ds_read_b128 v[67:70], v29 offset:1024
	ds_read_b128 v[71:74], v38 offset:4608
	s_waitcnt lgkmcnt(1)
	;;#ASMSTART
	v_dot2_f32_f16 v60, v23, v67, v60
	;;#ASMEND
	;;#ASMSTART
	v_dot2_f32_f16 v60, v24, v68, v60
	;;#ASMEND
	;;#ASMSTART
	v_dot2_f32_f16 v60, v25, v69, v60
	;;#ASMEND
	;;#ASMSTART
	v_dot2_f32_f16 v60, v26, v70, v60
	;;#ASMEND
	s_waitcnt lgkmcnt(0)
	;;#ASMSTART
	v_dot2_f32_f16 v61, v71, v67, v61
	;;#ASMEND
	;;#ASMSTART
	v_dot2_f32_f16 v61, v72, v68, v61
	;;#ASMEND
	;;#ASMSTART
	v_dot2_f32_f16 v61, v73, v69, v61
	;;#ASMEND
	;;#ASMSTART
	v_dot2_f32_f16 v61, v74, v70, v61
	;;#ASMEND
	ds_read_b128 v[23:26], v38 offset:16
	ds_read_b128 v[67:70], v29 offset:1040
	ds_read_b128 v[71:74], v38 offset:4624
	s_waitcnt lgkmcnt(1)
	;;#ASMSTART
	v_dot2_f32_f16 v60, v23, v67, v60
	;;#ASMEND
	;;#ASMSTART
	v_dot2_f32_f16 v60, v24, v68, v60
	;;#ASMEND
	;;#ASMSTART
	v_dot2_f32_f16 v60, v25, v69, v60
	;;#ASMEND
	;;#ASMSTART
	v_dot2_f32_f16 v60, v26, v70, v60
	;;#ASMEND
	s_waitcnt lgkmcnt(0)
	;;#ASMSTART
	v_dot2_f32_f16 v61, v71, v67, v61
	;;#ASMEND
	;;#ASMSTART
	v_dot2_f32_f16 v61, v72, v68, v61
	;;#ASMEND
	;;#ASMSTART
	v_dot2_f32_f16 v61, v73, v69, v61
	;;#ASMEND
	;;#ASMSTART
	v_dot2_f32_f16 v61, v74, v70, v61
	;;#ASMEND
	ds_read_b128 v[23:26], v38 offset:32
	;; [unrolled: 29-line block ×7, first 2 shown]
	ds_read_b128 v[67:70], v29 offset:1136
	ds_read_b128 v[71:74], v38 offset:4720
	s_waitcnt lgkmcnt(1)
	;;#ASMSTART
	v_dot2_f32_f16 v60, v23, v67, v60
	;;#ASMEND
	;;#ASMSTART
	v_dot2_f32_f16 v60, v24, v68, v60
	;;#ASMEND
	;; [unrolled: 3-line block ×4, first 2 shown]
	s_waitcnt lgkmcnt(0)
	;;#ASMSTART
	v_dot2_f32_f16 v61, v71, v67, v61
	;;#ASMEND
	;;#ASMSTART
	v_dot2_f32_f16 v61, v72, v68, v61
	;;#ASMEND
	;;#ASMSTART
	v_dot2_f32_f16 v61, v73, v69, v61
	;;#ASMEND
	;;#ASMSTART
	v_dot2_f32_f16 v61, v74, v70, v61
	;;#ASMEND
	s_clause 0x1
	global_load_ushort v8, v[21:22], off
	global_load_ushort v21, v[21:22], off offset:64
	s_waitcnt vmcnt(0)
	s_barrier
	buffer_gl0_inv
	s_clause 0x1
	global_load_dwordx4 v[22:25], v[19:20], off
	global_load_dwordx4 v[67:70], v[19:20], off offset:512
	v_cvt_f32_f16_e32 v8, v8
	v_cvt_f32_f16_e32 v19, v21
	v_add_f32_e32 v20, v60, v8
	v_add_f32_e32 v19, v61, v19
	;; [unrolled: 1-line block ×4, first 2 shown]
	v_max3_f32 v8, v59, v8, v21
	ds_bpermute_b32 v21, v66, v8
	s_waitcnt lgkmcnt(0)
	v_max_f32_e32 v21, v21, v21
	v_max_f32_e32 v8, v8, v21
	ds_bpermute_b32 v21, v65, v8
	s_waitcnt lgkmcnt(0)
	v_max_f32_e32 v21, v21, v21
	v_max_f32_e32 v8, v8, v21
	;; [unrolled: 4-line block ×5, first 2 shown]
	v_sub_f32_e32 v20, v20, v8
	v_sub_f32_e32 v19, v19, v8
	;; [unrolled: 1-line block ×3, first 2 shown]
	v_mul_f32_e32 v26, 0x3fb8aa3b, v20
	v_mul_f32_e32 v59, 0x3fb8aa3b, v19
	;; [unrolled: 1-line block ×3, first 2 shown]
	v_cmp_ngt_f32_e64 s1, 0xc2ce8ed0, v20
	v_cmp_ngt_f32_e32 vcc_lo, 0xc2ce8ed0, v19
	v_fma_f32 v61, 0x3fb8aa3b, v20, -v26
	v_rndne_f32_e32 v62, v26
	v_fma_f32 v63, 0x3fb8aa3b, v19, -v59
	v_rndne_f32_e32 v64, v59
	v_fma_f32 v65, 0x3fb8aa3b, v21, -v60
	v_fmac_f32_e32 v61, 0x32a5705f, v20
	v_sub_f32_e32 v26, v26, v62
	v_rndne_f32_e32 v66, v60
	v_fmac_f32_e32 v63, 0x32a5705f, v19
	v_sub_f32_e32 v59, v59, v64
	v_fmac_f32_e32 v65, 0x32a5705f, v21
	v_add_f32_e32 v26, v26, v61
	v_sub_f32_e32 v60, v60, v66
	v_cvt_i32_f32_e32 v62, v62
	v_add_f32_e32 v59, v59, v63
	v_cvt_i32_f32_e32 v64, v64
	v_exp_f32_e32 v26, v26
	v_add_f32_e32 v60, v60, v65
	v_cvt_i32_f32_e32 v66, v66
	v_exp_f32_e32 v59, v59
	v_cmp_ngt_f32_e64 s0, 0xc2ce8ed0, v21
	v_exp_f32_e32 v60, v60
	v_ldexp_f32 v26, v26, v62
	v_ldexp_f32 v59, v59, v64
	v_cndmask_b32_e64 v26, 0, v26, s1
	v_cmp_nlt_f32_e64 s1, 0x42b17218, v20
	v_ldexp_f32 v60, v60, v66
	v_cndmask_b32_e32 v59, 0, v59, vcc_lo
	v_cmp_nlt_f32_e32 vcc_lo, 0x42b17218, v19
	v_cndmask_b32_e64 v20, 0x7f800000, v26, s1
	v_cndmask_b32_e64 v19, 0, v60, s0
	v_cmp_nlt_f32_e64 s0, 0x42b17218, v21
	v_cndmask_b32_e32 v21, 0x7f800000, v59, vcc_lo
	v_cvt_f16_f32_e32 v26, v20
	v_cndmask_b32_e64 v19, 0x7f800000, v19, s0
	v_cvt_f16_f32_e32 v59, v21
	ds_write_b16 v40, v26
	ds_write_b16 v40, v59 offset:64
	s_waitcnt vmcnt(1)
	ds_write_b128 v41, v[22:25]
	s_waitcnt vmcnt(0)
	ds_write_b128 v42, v[67:70]
	s_waitcnt lgkmcnt(0)
	s_barrier
	buffer_gl0_inv
	ds_read_b128 v[22:25], v39
	ds_read2_b64 v[59:62], v43 offset1:32
	v_cvt_f16_f32_e32 v63, v19
	s_lshl_b64 s[0:1], s[8:9], 2
	v_mul_u32_u24_sdwa v26, v63, v47 dst_sel:DWORD dst_unused:UNUSED_PAD src0_sel:WORD_0 src1_sel:DWORD
	ds_read2_b64 v[63:66], v43 offset0:64 offset1:96
	ds_read2_b64 v[67:70], v43 offset0:128 offset1:160
	;; [unrolled: 1-line block ×3, first 2 shown]
	v_pk_mul_f16 v56, v56, v26
	v_pk_mul_f16 v58, v58, v26
	;; [unrolled: 1-line block ×6, first 2 shown]
	s_waitcnt lgkmcnt(4)
	v_mul_u32_u24_sdwa v75, v22, v47 dst_sel:DWORD dst_unused:UNUSED_PAD src0_sel:WORD_0 src1_sel:DWORD
	v_mul_u32_u24_sdwa v22, v22, v47 dst_sel:DWORD dst_unused:UNUSED_PAD src0_sel:WORD_1 src1_sel:DWORD
	s_waitcnt lgkmcnt(3)
	v_pk_mul_f16 v76, v59, v75
	v_pk_mul_f16 v77, v60, v75
	v_pk_fma_f16 v56, v61, v75, v56
	v_pk_fma_f16 v78, v62, v75, v58
	ds_read2_b64 v[58:61], v48 offset1:32
	s_waitcnt lgkmcnt(3)
	v_pk_fma_f16 v62, v63, v75, v53
	v_pk_fma_f16 v63, v64, v75, v54
	v_pk_fma_f16 v64, v65, v75, v52
	v_pk_fma_f16 v65, v66, v75, v51
	ds_read2_b64 v[51:54], v48 offset0:64 offset1:96
	v_pk_fma_f16 v55, v55, v26, v76
	v_pk_fma_f16 v26, v57, v26, v77
	s_waitcnt lgkmcnt(2)
	v_pk_fma_f16 v71, v71, v22, v62
	v_pk_fma_f16 v72, v72, v22, v63
	;; [unrolled: 1-line block ×4, first 2 shown]
	ds_read2_b64 v[62:65], v48 offset0:128 offset1:160
	v_pk_fma_f16 v56, v69, v22, v56
	v_pk_fma_f16 v57, v70, v22, v78
	;; [unrolled: 1-line block ×4, first 2 shown]
	ds_read2_b64 v[66:69], v48 offset0:192 offset1:224
	v_mul_u32_u24_sdwa v26, v23, v47 dst_sel:DWORD dst_unused:UNUSED_PAD src0_sel:WORD_0 src1_sel:DWORD
	v_mul_u32_u24_sdwa v23, v23, v47 dst_sel:DWORD dst_unused:UNUSED_PAD src0_sel:WORD_1 src1_sel:DWORD
	v_mul_u32_u24_sdwa v75, v24, v47 dst_sel:DWORD dst_unused:UNUSED_PAD src0_sel:WORD_1 src1_sel:DWORD
	v_mul_u32_u24_sdwa v76, v25, v47 dst_sel:DWORD dst_unused:UNUSED_PAD src0_sel:WORD_0 src1_sel:DWORD
	v_mul_u32_u24_sdwa v77, v25, v47 dst_sel:DWORD dst_unused:UNUSED_PAD src0_sel:WORD_1 src1_sel:DWORD
	s_waitcnt lgkmcnt(3)
	v_pk_fma_f16 v60, v60, v26, v56
	v_pk_fma_f16 v61, v61, v26, v57
	s_waitcnt lgkmcnt(2)
	v_pk_fma_f16 v70, v51, v26, v71
	v_pk_fma_f16 v71, v52, v26, v72
	;; [unrolled: 1-line block ×4, first 2 shown]
	ds_read2_b64 v[51:54], v49 offset1:32
	v_pk_fma_f16 v74, v58, v26, v55
	ds_read2_b64 v[55:58], v49 offset0:64 offset1:96
	v_pk_fma_f16 v22, v59, v26, v22
	s_waitcnt lgkmcnt(3)
	v_pk_fma_f16 v64, v64, v23, v60
	v_pk_fma_f16 v65, v65, v23, v61
	s_waitcnt lgkmcnt(2)
	v_pk_fma_f16 v26, v66, v23, v70
	v_pk_fma_f16 v70, v67, v23, v71
	;; [unrolled: 1-line block ×4, first 2 shown]
	ds_read2_b64 v[66:69], v49 offset0:192 offset1:224
	v_pk_fma_f16 v73, v62, v23, v74
	ds_read2_b64 v[59:62], v49 offset0:128 offset1:160
	v_pk_fma_f16 v63, v63, v23, v22
	v_mul_u32_u24_sdwa v74, v24, v47 dst_sel:DWORD dst_unused:UNUSED_PAD src0_sel:WORD_0 src1_sel:DWORD
	ds_read2_b64 v[22:25], v50 offset1:32
	s_waitcnt lgkmcnt(4)
	v_pk_fma_f16 v78, v53, v74, v64
	s_waitcnt lgkmcnt(3)
	v_pk_fma_f16 v26, v55, v74, v26
	v_pk_fma_f16 v70, v56, v74, v70
	;; [unrolled: 1-line block ×7, first 2 shown]
	ds_read2_b64 v[55:58], v50 offset0:64 offset1:96
	ds_read2_b64 v[51:54], v50 offset0:128 offset1:160
	s_waitcnt lgkmcnt(4)
	v_pk_fma_f16 v26, v66, v75, v26
	v_pk_fma_f16 v80, v67, v75, v70
	;; [unrolled: 1-line block ×4, first 2 shown]
	ds_read2_b64 v[63:66], v50 offset0:192 offset1:224
	s_waitcnt lgkmcnt(0)
	s_barrier
	buffer_gl0_inv
	v_pk_fma_f16 v78, v61, v75, v78
	v_pk_fma_f16 v79, v62, v75, v79
	;; [unrolled: 1-line block ×4, first 2 shown]
	s_clause 0x1
	global_load_dwordx4 v[59:62], v[17:18], off
	global_load_dwordx4 v[67:70], v[17:18], off offset:512
	v_pk_fma_f16 v17, v24, v76, v78
	v_pk_fma_f16 v18, v25, v76, v79
	;; [unrolled: 1-line block ×16, first 2 shown]
	v_add_f32_e32 v77, v20, v21
	s_waitcnt vmcnt(1)
	ds_write_b128 v41, v[59:62]
	s_waitcnt vmcnt(0)
	ds_write_b128 v42, v[67:70]
	s_waitcnt lgkmcnt(0)
	s_barrier
	buffer_gl0_inv
	ds_read_b128 v[22:25], v39 offset:16
	ds_read2_b64 v[51:54], v43 offset1:32
	ds_read2_b64 v[55:58], v43 offset0:64 offset1:96
	ds_read2_b64 v[59:62], v43 offset0:128 offset1:160
	;; [unrolled: 1-line block ×3, first 2 shown]
	ds_read2_b64 v[67:70], v48 offset1:32
	s_waitcnt lgkmcnt(5)
	v_mul_u32_u24_sdwa v76, v22, v47 dst_sel:DWORD dst_unused:UNUSED_PAD src0_sel:WORD_0 src1_sel:DWORD
	v_mul_u32_u24_sdwa v22, v22, v47 dst_sel:DWORD dst_unused:UNUSED_PAD src0_sel:WORD_1 src1_sel:DWORD
	s_waitcnt lgkmcnt(4)
	v_pk_fma_f16 v74, v51, v76, v74
	v_pk_fma_f16 v75, v52, v76, v75
	v_pk_fma_f16 v17, v53, v76, v17
	v_pk_fma_f16 v18, v54, v76, v18
	ds_read2_b64 v[51:54], v48 offset0:64 offset1:96
	s_waitcnt lgkmcnt(4)
	v_pk_fma_f16 v71, v55, v76, v71
	v_pk_fma_f16 v72, v56, v76, v72
	v_pk_fma_f16 v26, v57, v76, v26
	v_pk_fma_f16 v73, v58, v76, v73
	ds_read2_b64 v[55:58], v48 offset0:128 offset1:160
	;; [unrolled: 6-line block ×3, first 2 shown]
	s_waitcnt lgkmcnt(4)
	v_pk_fma_f16 v71, v63, v22, v71
	v_pk_fma_f16 v72, v64, v22, v72
	;; [unrolled: 1-line block ×4, first 2 shown]
	v_mul_u32_u24_sdwa v73, v23, v47 dst_sel:DWORD dst_unused:UNUSED_PAD src0_sel:WORD_0 src1_sel:DWORD
	ds_read2_b64 v[63:66], v49 offset1:32
	v_mul_u32_u24_sdwa v23, v23, v47 dst_sel:DWORD dst_unused:UNUSED_PAD src0_sel:WORD_1 src1_sel:DWORD
	s_waitcnt lgkmcnt(4)
	v_pk_fma_f16 v74, v67, v73, v74
	v_pk_fma_f16 v75, v68, v73, v75
	v_pk_fma_f16 v17, v69, v73, v17
	v_pk_fma_f16 v18, v70, v73, v18
	ds_read2_b64 v[67:70], v49 offset0:64 offset1:96
	s_waitcnt lgkmcnt(4)
	v_pk_fma_f16 v71, v51, v73, v71
	v_pk_fma_f16 v72, v52, v73, v72
	v_pk_fma_f16 v26, v53, v73, v26
	v_pk_fma_f16 v22, v54, v73, v22
	ds_read2_b64 v[51:54], v49 offset0:128 offset1:160
	;; [unrolled: 6-line block ×3, first 2 shown]
	s_waitcnt lgkmcnt(4)
	v_pk_fma_f16 v71, v59, v23, v71
	v_pk_fma_f16 v72, v60, v23, v72
	;; [unrolled: 1-line block ×4, first 2 shown]
	v_mul_u32_u24_sdwa v23, v24, v47 dst_sel:DWORD dst_unused:UNUSED_PAD src0_sel:WORD_0 src1_sel:DWORD
	ds_read2_b64 v[59:62], v50 offset1:32
	s_waitcnt lgkmcnt(4)
	v_pk_fma_f16 v73, v63, v23, v73
	v_pk_fma_f16 v74, v64, v23, v74
	;; [unrolled: 1-line block ×4, first 2 shown]
	s_waitcnt lgkmcnt(3)
	v_pk_fma_f16 v71, v67, v23, v71
	v_pk_fma_f16 v72, v68, v23, v72
	;; [unrolled: 1-line block ×4, first 2 shown]
	v_mul_u32_u24_sdwa v23, v24, v47 dst_sel:DWORD dst_unused:UNUSED_PAD src0_sel:WORD_1 src1_sel:DWORD
	ds_read2_b64 v[63:66], v50 offset0:64 offset1:96
	ds_read2_b64 v[67:70], v50 offset0:128 offset1:160
	s_waitcnt lgkmcnt(4)
	v_pk_fma_f16 v24, v51, v23, v73
	v_pk_fma_f16 v73, v52, v23, v74
	;; [unrolled: 1-line block ×4, first 2 shown]
	ds_read2_b64 v[51:54], v50 offset0:192 offset1:224
	s_waitcnt lgkmcnt(0)
	s_barrier
	buffer_gl0_inv
	v_pk_fma_f16 v71, v55, v23, v71
	v_pk_fma_f16 v72, v56, v23, v72
	;; [unrolled: 1-line block ×4, first 2 shown]
	s_clause 0x1
	global_load_dwordx4 v[55:58], v[15:16], off
	global_load_dwordx4 v[15:18], v[15:16], off offset:512
	v_mul_u32_u24_sdwa v23, v25, v47 dst_sel:DWORD dst_unused:UNUSED_PAD src0_sel:WORD_0 src1_sel:DWORD
	v_mul_u32_u24_sdwa v25, v25, v47 dst_sel:DWORD dst_unused:UNUSED_PAD src0_sel:WORD_1 src1_sel:DWORD
	s_waitcnt vmcnt(1)
	ds_write_b128 v41, v[55:58]
	s_waitcnt vmcnt(0)
	ds_write_b128 v42, v[15:18]
	v_pk_fma_f16 v24, v59, v23, v24
	v_pk_fma_f16 v59, v60, v23, v73
	;; [unrolled: 1-line block ×16, first 2 shown]
	s_waitcnt lgkmcnt(0)
	s_barrier
	buffer_gl0_inv
	ds_read_b128 v[15:18], v39 offset:32
	ds_read2_b64 v[22:25], v43 offset1:32
	ds_read2_b64 v[51:54], v43 offset0:64 offset1:96
	ds_read2_b64 v[55:58], v43 offset0:128 offset1:160
	;; [unrolled: 1-line block ×3, first 2 shown]
	ds_read2_b64 v[63:66], v48 offset1:32
	s_waitcnt lgkmcnt(5)
	v_mul_u32_u24_sdwa v74, v15, v47 dst_sel:DWORD dst_unused:UNUSED_PAD src0_sel:WORD_0 src1_sel:DWORD
	v_mul_u32_u24_sdwa v15, v15, v47 dst_sel:DWORD dst_unused:UNUSED_PAD src0_sel:WORD_1 src1_sel:DWORD
	s_waitcnt lgkmcnt(4)
	v_pk_fma_f16 v67, v22, v74, v67
	v_pk_fma_f16 v68, v23, v74, v68
	v_pk_fma_f16 v69, v24, v74, v69
	v_pk_fma_f16 v70, v25, v74, v70
	ds_read2_b64 v[22:25], v48 offset0:64 offset1:96
	s_waitcnt lgkmcnt(4)
	v_pk_fma_f16 v71, v51, v74, v71
	v_pk_fma_f16 v72, v52, v74, v72
	v_pk_fma_f16 v26, v53, v74, v26
	v_pk_fma_f16 v73, v54, v74, v73
	ds_read2_b64 v[51:54], v48 offset0:128 offset1:160
	;; [unrolled: 6-line block ×3, first 2 shown]
	s_waitcnt lgkmcnt(4)
	v_pk_fma_f16 v71, v59, v15, v71
	v_pk_fma_f16 v72, v60, v15, v72
	;; [unrolled: 1-line block ×4, first 2 shown]
	v_mul_u32_u24_sdwa v73, v16, v47 dst_sel:DWORD dst_unused:UNUSED_PAD src0_sel:WORD_0 src1_sel:DWORD
	ds_read2_b64 v[59:62], v49 offset1:32
	v_mul_u32_u24_sdwa v16, v16, v47 dst_sel:DWORD dst_unused:UNUSED_PAD src0_sel:WORD_1 src1_sel:DWORD
	s_waitcnt lgkmcnt(4)
	v_pk_fma_f16 v67, v63, v73, v67
	v_pk_fma_f16 v68, v64, v73, v68
	v_pk_fma_f16 v69, v65, v73, v69
	v_pk_fma_f16 v70, v66, v73, v70
	ds_read2_b64 v[63:66], v49 offset0:64 offset1:96
	s_waitcnt lgkmcnt(4)
	v_pk_fma_f16 v71, v22, v73, v71
	v_pk_fma_f16 v72, v23, v73, v72
	v_pk_fma_f16 v26, v24, v73, v26
	v_pk_fma_f16 v15, v25, v73, v15
	ds_read2_b64 v[22:25], v49 offset0:128 offset1:160
	;; [unrolled: 6-line block ×3, first 2 shown]
	s_waitcnt lgkmcnt(4)
	v_pk_fma_f16 v71, v55, v16, v71
	v_pk_fma_f16 v72, v56, v16, v72
	;; [unrolled: 1-line block ×4, first 2 shown]
	v_mul_u32_u24_sdwa v16, v17, v47 dst_sel:DWORD dst_unused:UNUSED_PAD src0_sel:WORD_0 src1_sel:DWORD
	ds_read2_b64 v[55:58], v50 offset1:32
	v_mul_u32_u24_sdwa v73, v18, v47 dst_sel:DWORD dst_unused:UNUSED_PAD src0_sel:WORD_0 src1_sel:DWORD
	v_mul_u32_u24_sdwa v18, v18, v47 dst_sel:DWORD dst_unused:UNUSED_PAD src0_sel:WORD_1 src1_sel:DWORD
	s_waitcnt lgkmcnt(4)
	v_pk_fma_f16 v67, v59, v16, v67
	v_pk_fma_f16 v68, v60, v16, v68
	;; [unrolled: 1-line block ×4, first 2 shown]
	s_waitcnt lgkmcnt(3)
	v_pk_fma_f16 v71, v63, v16, v71
	v_pk_fma_f16 v72, v64, v16, v72
	;; [unrolled: 1-line block ×4, first 2 shown]
	v_mul_u32_u24_sdwa v16, v17, v47 dst_sel:DWORD dst_unused:UNUSED_PAD src0_sel:WORD_1 src1_sel:DWORD
	ds_read2_b64 v[59:62], v50 offset0:64 offset1:96
	ds_read2_b64 v[63:66], v50 offset0:128 offset1:160
	s_waitcnt lgkmcnt(4)
	v_pk_fma_f16 v17, v22, v16, v67
	v_pk_fma_f16 v67, v23, v16, v68
	;; [unrolled: 1-line block ×4, first 2 shown]
	ds_read2_b64 v[22:25], v50 offset0:192 offset1:224
	s_waitcnt lgkmcnt(0)
	s_barrier
	buffer_gl0_inv
	v_pk_fma_f16 v70, v51, v16, v71
	v_pk_fma_f16 v71, v52, v16, v72
	;; [unrolled: 1-line block ×4, first 2 shown]
	s_clause 0x1
	global_load_dwordx4 v[51:54], v[13:14], off
	global_load_dwordx4 v[13:16], v[13:14], off offset:512
	v_pk_fma_f16 v17, v55, v73, v17
	v_pk_fma_f16 v55, v56, v73, v67
	;; [unrolled: 1-line block ×16, first 2 shown]
	s_waitcnt vmcnt(1)
	ds_write_b128 v41, v[51:54]
	s_waitcnt vmcnt(0)
	ds_write_b128 v42, v[13:16]
	s_waitcnt lgkmcnt(0)
	s_barrier
	buffer_gl0_inv
	ds_read_b128 v[13:16], v39 offset:48
	ds_read2_b64 v[22:25], v43 offset1:32
	ds_read2_b64 v[51:54], v43 offset0:64 offset1:96
	ds_read2_b64 v[55:58], v43 offset0:128 offset1:160
	;; [unrolled: 1-line block ×3, first 2 shown]
	ds_read2_b64 v[63:66], v48 offset1:32
	ds_read2_b64 v[67:70], v48 offset0:64 offset1:96
	s_waitcnt lgkmcnt(6)
	v_mul_u32_u24_sdwa v76, v13, v47 dst_sel:DWORD dst_unused:UNUSED_PAD src0_sel:WORD_0 src1_sel:DWORD
	v_mul_u32_u24_sdwa v13, v13, v47 dst_sel:DWORD dst_unused:UNUSED_PAD src0_sel:WORD_1 src1_sel:DWORD
	s_waitcnt lgkmcnt(5)
	v_pk_fma_f16 v17, v22, v76, v17
	v_pk_fma_f16 v71, v23, v76, v71
	v_pk_fma_f16 v72, v24, v76, v72
	v_pk_fma_f16 v73, v25, v76, v73
	ds_read2_b64 v[22:25], v48 offset0:128 offset1:160
	s_waitcnt lgkmcnt(5)
	v_pk_fma_f16 v74, v51, v76, v74
	v_pk_fma_f16 v75, v52, v76, v75
	;; [unrolled: 1-line block ×4, first 2 shown]
	ds_read2_b64 v[51:54], v48 offset0:192 offset1:224
	s_waitcnt lgkmcnt(5)
	v_pk_fma_f16 v17, v55, v13, v17
	v_pk_fma_f16 v71, v56, v13, v71
	;; [unrolled: 1-line block ×4, first 2 shown]
	ds_read2_b64 v[55:58], v49 offset1:32
	s_waitcnt lgkmcnt(5)
	v_pk_fma_f16 v74, v59, v13, v74
	v_pk_fma_f16 v75, v60, v13, v75
	;; [unrolled: 1-line block ×4, first 2 shown]
	v_mul_u32_u24_sdwa v18, v14, v47 dst_sel:DWORD dst_unused:UNUSED_PAD src0_sel:WORD_0 src1_sel:DWORD
	ds_read2_b64 v[59:62], v49 offset0:64 offset1:96
	v_mul_u32_u24_sdwa v14, v14, v47 dst_sel:DWORD dst_unused:UNUSED_PAD src0_sel:WORD_1 src1_sel:DWORD
	v_mul_u32_u24_sdwa v76, v16, v47 dst_sel:DWORD dst_unused:UNUSED_PAD src0_sel:WORD_0 src1_sel:DWORD
	v_mul_u32_u24_sdwa v16, v16, v47 dst_sel:DWORD dst_unused:UNUSED_PAD src0_sel:WORD_1 src1_sel:DWORD
	s_waitcnt lgkmcnt(5)
	v_pk_fma_f16 v17, v63, v18, v17
	v_pk_fma_f16 v71, v64, v18, v71
	;; [unrolled: 1-line block ×4, first 2 shown]
	ds_read2_b64 v[63:66], v49 offset0:128 offset1:160
	s_waitcnt lgkmcnt(5)
	v_pk_fma_f16 v74, v67, v18, v74
	v_pk_fma_f16 v75, v68, v18, v75
	v_pk_fma_f16 v26, v69, v18, v26
	v_pk_fma_f16 v13, v70, v18, v13
	s_waitcnt lgkmcnt(4)
	v_pk_fma_f16 v17, v22, v14, v17
	v_pk_fma_f16 v18, v23, v14, v71
	v_pk_fma_f16 v71, v24, v14, v72
	v_pk_fma_f16 v72, v25, v14, v73
	;; [unrolled: 5-line block ×3, first 2 shown]
	v_mul_u32_u24_sdwa v14, v15, v47 dst_sel:DWORD dst_unused:UNUSED_PAD src0_sel:WORD_0 src1_sel:DWORD
	v_mul_u32_u24_sdwa v15, v15, v47 dst_sel:DWORD dst_unused:UNUSED_PAD src0_sel:WORD_1 src1_sel:DWORD
	ds_read2_b64 v[67:70], v49 offset0:192 offset1:224
	ds_read2_b64 v[22:25], v50 offset1:32
	ds_read2_b64 v[51:54], v50 offset0:64 offset1:96
	s_waitcnt lgkmcnt(5)
	v_pk_fma_f16 v17, v55, v14, v17
	v_pk_fma_f16 v18, v56, v14, v18
	;; [unrolled: 1-line block ×4, first 2 shown]
	ds_read2_b64 v[55:58], v50 offset0:128 offset1:160
	s_waitcnt lgkmcnt(5)
	v_pk_fma_f16 v73, v59, v14, v73
	v_pk_fma_f16 v74, v60, v14, v74
	;; [unrolled: 1-line block ×4, first 2 shown]
	ds_read2_b64 v[59:62], v50 offset0:192 offset1:224
	s_waitcnt lgkmcnt(0)
	s_barrier
	buffer_gl0_inv
	v_pk_fma_f16 v17, v63, v15, v17
	v_pk_fma_f16 v18, v64, v15, v18
	;; [unrolled: 1-line block ×4, first 2 shown]
	s_clause 0x1
	global_load_dwordx4 v[63:66], v[11:12], off
	global_load_dwordx4 v[11:14], v[11:12], off offset:512
	v_pk_fma_f16 v67, v67, v15, v73
	v_pk_fma_f16 v68, v68, v15, v74
	;; [unrolled: 1-line block ×20, first 2 shown]
	s_waitcnt vmcnt(1)
	ds_write_b128 v41, v[63:66]
	s_waitcnt vmcnt(0)
	ds_write_b128 v42, v[11:14]
	s_waitcnt lgkmcnt(0)
	s_barrier
	buffer_gl0_inv
	ds_read_b128 v[11:14], v39 offset:64
	ds_read2_b64 v[15:18], v43 offset1:32
	ds_read2_b64 v[22:25], v43 offset0:64 offset1:96
	ds_read2_b64 v[51:54], v43 offset0:128 offset1:160
	;; [unrolled: 1-line block ×3, first 2 shown]
	ds_read2_b64 v[59:62], v48 offset1:32
	ds_read2_b64 v[63:66], v48 offset0:64 offset1:96
	s_waitcnt lgkmcnt(6)
	v_mul_u32_u24_sdwa v74, v11, v47 dst_sel:DWORD dst_unused:UNUSED_PAD src0_sel:WORD_0 src1_sel:DWORD
	v_mul_u32_u24_sdwa v11, v11, v47 dst_sel:DWORD dst_unused:UNUSED_PAD src0_sel:WORD_1 src1_sel:DWORD
	v_mul_u32_u24_sdwa v76, v14, v47 dst_sel:DWORD dst_unused:UNUSED_PAD src0_sel:WORD_0 src1_sel:DWORD
	v_mul_u32_u24_sdwa v14, v14, v47 dst_sel:DWORD dst_unused:UNUSED_PAD src0_sel:WORD_1 src1_sel:DWORD
	s_waitcnt lgkmcnt(5)
	v_pk_fma_f16 v67, v15, v74, v67
	v_pk_fma_f16 v68, v16, v74, v68
	;; [unrolled: 1-line block ×4, first 2 shown]
	ds_read2_b64 v[15:18], v48 offset0:128 offset1:160
	s_waitcnt lgkmcnt(5)
	v_pk_fma_f16 v71, v22, v74, v71
	v_pk_fma_f16 v72, v23, v74, v72
	;; [unrolled: 1-line block ×4, first 2 shown]
	ds_read2_b64 v[22:25], v48 offset0:192 offset1:224
	s_waitcnt lgkmcnt(5)
	v_pk_fma_f16 v67, v51, v11, v67
	v_pk_fma_f16 v68, v52, v11, v68
	;; [unrolled: 1-line block ×4, first 2 shown]
	ds_read2_b64 v[51:54], v49 offset1:32
	s_waitcnt lgkmcnt(5)
	v_pk_fma_f16 v71, v55, v11, v71
	v_pk_fma_f16 v72, v56, v11, v72
	;; [unrolled: 1-line block ×4, first 2 shown]
	v_mul_u32_u24_sdwa v73, v12, v47 dst_sel:DWORD dst_unused:UNUSED_PAD src0_sel:WORD_0 src1_sel:DWORD
	ds_read2_b64 v[55:58], v49 offset0:64 offset1:96
	v_mul_u32_u24_sdwa v12, v12, v47 dst_sel:DWORD dst_unused:UNUSED_PAD src0_sel:WORD_1 src1_sel:DWORD
	s_waitcnt lgkmcnt(5)
	v_pk_fma_f16 v67, v59, v73, v67
	v_pk_fma_f16 v68, v60, v73, v68
	;; [unrolled: 1-line block ×4, first 2 shown]
	ds_read2_b64 v[59:62], v49 offset0:128 offset1:160
	s_waitcnt lgkmcnt(5)
	v_pk_fma_f16 v71, v63, v73, v71
	v_pk_fma_f16 v72, v64, v73, v72
	v_pk_fma_f16 v26, v65, v73, v26
	v_pk_fma_f16 v11, v66, v73, v11
	s_waitcnt lgkmcnt(4)
	v_pk_fma_f16 v67, v15, v12, v67
	v_pk_fma_f16 v68, v16, v12, v68
	v_pk_fma_f16 v69, v17, v12, v69
	v_pk_fma_f16 v70, v18, v12, v70
	;; [unrolled: 5-line block ×3, first 2 shown]
	v_mul_u32_u24_sdwa v12, v13, v47 dst_sel:DWORD dst_unused:UNUSED_PAD src0_sel:WORD_0 src1_sel:DWORD
	v_mul_u32_u24_sdwa v13, v13, v47 dst_sel:DWORD dst_unused:UNUSED_PAD src0_sel:WORD_1 src1_sel:DWORD
	ds_read2_b64 v[63:66], v49 offset0:192 offset1:224
	ds_read2_b64 v[15:18], v50 offset1:32
	ds_read2_b64 v[22:25], v50 offset0:64 offset1:96
	s_waitcnt lgkmcnt(5)
	v_pk_fma_f16 v67, v51, v12, v67
	v_pk_fma_f16 v68, v52, v12, v68
	;; [unrolled: 1-line block ×4, first 2 shown]
	ds_read2_b64 v[51:54], v50 offset0:128 offset1:160
	s_waitcnt lgkmcnt(5)
	v_pk_fma_f16 v71, v55, v12, v71
	v_pk_fma_f16 v72, v56, v12, v72
	;; [unrolled: 1-line block ×4, first 2 shown]
	ds_read2_b64 v[55:58], v50 offset0:192 offset1:224
	s_waitcnt lgkmcnt(0)
	s_barrier
	buffer_gl0_inv
	v_pk_fma_f16 v74, v59, v13, v67
	v_pk_fma_f16 v75, v60, v13, v68
	;; [unrolled: 1-line block ×4, first 2 shown]
	s_clause 0x1
	global_load_dwordx4 v[59:62], v[9:10], off
	global_load_dwordx4 v[9:12], v[9:10], off offset:512
	v_pk_fma_f16 v63, v63, v13, v71
	v_pk_fma_f16 v64, v64, v13, v72
	;; [unrolled: 1-line block ×20, first 2 shown]
	s_waitcnt vmcnt(1)
	ds_write_b128 v41, v[59:62]
	s_waitcnt vmcnt(0)
	ds_write_b128 v42, v[9:12]
	s_waitcnt lgkmcnt(0)
	s_barrier
	buffer_gl0_inv
	ds_read_b128 v[9:12], v39 offset:80
	ds_read2_b64 v[13:16], v43 offset1:32
	ds_read2_b64 v[22:25], v43 offset0:64 offset1:96
	ds_read2_b64 v[51:54], v43 offset0:128 offset1:160
	;; [unrolled: 1-line block ×3, first 2 shown]
	ds_read2_b64 v[59:62], v48 offset1:32
	ds_read2_b64 v[63:66], v48 offset0:64 offset1:96
	v_add_co_u32 v67, vcc_lo, v44, s0
	v_add_co_ci_u32_e64 v68, null, s1, v45, vcc_lo
	s_or_b32 s0, s14, 56
	s_mul_hi_i32 s1, s0, s15
	s_mul_i32 s0, s0, s15
	s_lshl_b64 s[0:1], s[0:1], 2
	s_waitcnt lgkmcnt(6)
	v_mul_u32_u24_sdwa v74, v9, v47 dst_sel:DWORD dst_unused:UNUSED_PAD src0_sel:WORD_0 src1_sel:DWORD
	v_mul_u32_u24_sdwa v9, v9, v47 dst_sel:DWORD dst_unused:UNUSED_PAD src0_sel:WORD_1 src1_sel:DWORD
	v_mul_u32_u24_sdwa v76, v12, v47 dst_sel:DWORD dst_unused:UNUSED_PAD src0_sel:WORD_0 src1_sel:DWORD
	v_mul_u32_u24_sdwa v12, v12, v47 dst_sel:DWORD dst_unused:UNUSED_PAD src0_sel:WORD_1 src1_sel:DWORD
	s_waitcnt lgkmcnt(5)
	v_pk_fma_f16 v26, v13, v74, v26
	v_pk_fma_f16 v69, v14, v74, v69
	;; [unrolled: 1-line block ×4, first 2 shown]
	ds_read2_b64 v[13:16], v48 offset0:128 offset1:160
	s_waitcnt lgkmcnt(5)
	v_pk_fma_f16 v70, v22, v74, v70
	v_pk_fma_f16 v71, v23, v74, v71
	v_pk_fma_f16 v72, v24, v74, v72
	v_pk_fma_f16 v73, v25, v74, v73
	ds_read2_b64 v[22:25], v48 offset0:192 offset1:224
	s_waitcnt lgkmcnt(5)
	v_pk_fma_f16 v26, v51, v9, v26
	v_pk_fma_f16 v69, v52, v9, v69
	;; [unrolled: 1-line block ×4, first 2 shown]
	ds_read2_b64 v[51:54], v49 offset1:32
	s_waitcnt lgkmcnt(5)
	v_pk_fma_f16 v70, v55, v9, v70
	v_pk_fma_f16 v71, v56, v9, v71
	;; [unrolled: 1-line block ×4, first 2 shown]
	ds_read2_b64 v[55:58], v49 offset0:64 offset1:96
	v_mul_u32_u24_sdwa v73, v10, v47 dst_sel:DWORD dst_unused:UNUSED_PAD src0_sel:WORD_0 src1_sel:DWORD
	v_mul_u32_u24_sdwa v10, v10, v47 dst_sel:DWORD dst_unused:UNUSED_PAD src0_sel:WORD_1 src1_sel:DWORD
	s_waitcnt lgkmcnt(5)
	v_pk_fma_f16 v26, v59, v73, v26
	v_pk_fma_f16 v69, v60, v73, v69
	;; [unrolled: 1-line block ×4, first 2 shown]
	ds_read2_b64 v[59:62], v49 offset0:128 offset1:160
	s_waitcnt lgkmcnt(5)
	v_pk_fma_f16 v70, v63, v73, v70
	v_pk_fma_f16 v71, v64, v73, v71
	v_pk_fma_f16 v72, v65, v73, v72
	v_pk_fma_f16 v9, v66, v73, v9
	s_waitcnt lgkmcnt(4)
	v_pk_fma_f16 v26, v13, v10, v26
	v_pk_fma_f16 v69, v14, v10, v69
	v_pk_fma_f16 v17, v15, v10, v17
	v_pk_fma_f16 v18, v16, v10, v18
	;; [unrolled: 5-line block ×3, first 2 shown]
	v_mul_u32_u24_sdwa v10, v11, v47 dst_sel:DWORD dst_unused:UNUSED_PAD src0_sel:WORD_0 src1_sel:DWORD
	ds_read2_b64 v[63:66], v49 offset0:192 offset1:224
	ds_read2_b64 v[13:16], v50 offset1:32
	ds_read2_b64 v[22:25], v50 offset0:64 offset1:96
	s_waitcnt lgkmcnt(5)
	v_pk_fma_f16 v26, v51, v10, v26
	v_pk_fma_f16 v69, v52, v10, v69
	;; [unrolled: 1-line block ×4, first 2 shown]
	s_waitcnt lgkmcnt(4)
	v_pk_fma_f16 v73, v55, v10, v70
	v_pk_fma_f16 v71, v56, v10, v71
	;; [unrolled: 1-line block ×4, first 2 shown]
	v_mul_u32_u24_sdwa v10, v11, v47 dst_sel:DWORD dst_unused:UNUSED_PAD src0_sel:WORD_1 src1_sel:DWORD
	ds_read2_b64 v[51:54], v50 offset0:128 offset1:160
	ds_read2_b64 v[55:58], v50 offset0:192 offset1:224
	s_waitcnt lgkmcnt(0)
	s_barrier
	buffer_gl0_inv
	v_pk_fma_f16 v11, v59, v10, v26
	v_pk_fma_f16 v26, v60, v10, v69
	v_pk_fma_f16 v74, v61, v10, v17
	v_pk_fma_f16 v75, v62, v10, v18
	s_clause 0x1
	global_load_dwordx4 v[59:62], v[67:68], off
	global_load_dwordx4 v[67:70], v[67:68], off offset:512
	v_pk_fma_f16 v20, v63, v10, v73
	v_pk_fma_f16 v21, v64, v10, v71
	v_pk_fma_f16 v63, v65, v10, v72
	v_pk_fma_f16 v9, v66, v10, v9
	v_pk_fma_f16 v10, v13, v76, v11
	v_pk_fma_f16 v11, v14, v76, v26
	v_pk_fma_f16 v13, v15, v76, v74
	v_pk_fma_f16 v14, v16, v76, v75
	v_pk_fma_f16 v15, v22, v76, v20
	v_pk_fma_f16 v16, v23, v76, v21
	v_pk_fma_f16 v20, v24, v76, v63
	v_pk_fma_f16 v9, v25, v76, v9
	v_pk_fma_f16 v24, v51, v12, v10
	v_pk_fma_f16 v25, v52, v12, v11
	v_pk_fma_f16 v26, v53, v12, v13
	v_pk_fma_f16 v71, v54, v12, v14
	v_pk_fma_f16 v72, v55, v12, v15
	v_pk_fma_f16 v73, v56, v12, v16
	v_pk_fma_f16 v74, v57, v12, v20
	v_pk_fma_f16 v75, v58, v12, v9
	s_waitcnt vmcnt(1)
	ds_write_b128 v41, v[59:62]
	s_waitcnt vmcnt(0)
	ds_write_b128 v42, v[67:70]
	s_waitcnt lgkmcnt(0)
	s_barrier
	buffer_gl0_inv
	ds_read_b128 v[9:12], v39 offset:96
	ds_read2_b64 v[13:16], v43 offset1:32
	ds_read2_b64 v[20:23], v43 offset0:64 offset1:96
	ds_read2_b64 v[51:54], v43 offset0:128 offset1:160
	;; [unrolled: 1-line block ×3, first 2 shown]
	ds_read2_b64 v[59:62], v48 offset1:32
	ds_read2_b64 v[63:66], v48 offset0:64 offset1:96
	ds_read2_b64 v[67:70], v48 offset0:128 offset1:160
	v_add_co_u32 v17, vcc_lo, v44, s0
	v_add_co_ci_u32_e64 v18, null, s1, v45, vcc_lo
	s_waitcnt lgkmcnt(7)
	v_mul_u32_u24_sdwa v76, v9, v47 dst_sel:DWORD dst_unused:UNUSED_PAD src0_sel:WORD_0 src1_sel:DWORD
	v_mul_u32_u24_sdwa v9, v9, v47 dst_sel:DWORD dst_unused:UNUSED_PAD src0_sel:WORD_1 src1_sel:DWORD
	v_mul_u32_u24_sdwa v78, v11, v47 dst_sel:DWORD dst_unused:UNUSED_PAD src0_sel:WORD_0 src1_sel:DWORD
	v_mul_u32_u24_sdwa v79, v11, v47 dst_sel:DWORD dst_unused:UNUSED_PAD src0_sel:WORD_1 src1_sel:DWORD
	v_mul_u32_u24_sdwa v80, v12, v47 dst_sel:DWORD dst_unused:UNUSED_PAD src0_sel:WORD_0 src1_sel:DWORD
	s_waitcnt lgkmcnt(6)
	v_pk_fma_f16 v24, v13, v76, v24
	v_pk_fma_f16 v25, v14, v76, v25
	;; [unrolled: 1-line block ×4, first 2 shown]
	ds_read2_b64 v[13:16], v48 offset0:192 offset1:224
	s_waitcnt lgkmcnt(6)
	v_pk_fma_f16 v72, v20, v76, v72
	v_pk_fma_f16 v73, v21, v76, v73
	v_pk_fma_f16 v74, v22, v76, v74
	v_pk_fma_f16 v75, v23, v76, v75
	ds_read2_b64 v[20:23], v49 offset1:32
	s_waitcnt lgkmcnt(6)
	v_pk_fma_f16 v24, v51, v9, v24
	v_pk_fma_f16 v25, v52, v9, v25
	;; [unrolled: 1-line block ×4, first 2 shown]
	ds_read2_b64 v[51:54], v49 offset0:64 offset1:96
	s_waitcnt lgkmcnt(6)
	v_pk_fma_f16 v72, v55, v9, v72
	v_pk_fma_f16 v73, v56, v9, v73
	;; [unrolled: 1-line block ×4, first 2 shown]
	v_mul_u32_u24_sdwa v75, v10, v47 dst_sel:DWORD dst_unused:UNUSED_PAD src0_sel:WORD_0 src1_sel:DWORD
	v_mul_u32_u24_sdwa v76, v10, v47 dst_sel:DWORD dst_unused:UNUSED_PAD src0_sel:WORD_1 src1_sel:DWORD
	ds_read2_b64 v[55:58], v49 offset0:128 offset1:160
	v_mul_u32_u24_sdwa v81, v12, v47 dst_sel:DWORD dst_unused:UNUSED_PAD src0_sel:WORD_1 src1_sel:DWORD
	s_waitcnt lgkmcnt(6)
	v_pk_fma_f16 v24, v59, v75, v24
	v_pk_fma_f16 v25, v60, v75, v25
	v_pk_fma_f16 v26, v61, v75, v26
	v_pk_fma_f16 v71, v62, v75, v71
	s_waitcnt lgkmcnt(5)
	v_pk_fma_f16 v72, v63, v75, v72
	v_pk_fma_f16 v73, v64, v75, v73
	v_pk_fma_f16 v74, v65, v75, v74
	v_pk_fma_f16 v75, v66, v75, v9
	;; [unrolled: 5-line block ×4, first 2 shown]
	ds_read2_b64 v[59:62], v49 offset0:192 offset1:224
	ds_read2_b64 v[9:12], v50 offset1:32
	ds_read2_b64 v[63:66], v50 offset0:64 offset1:96
	ds_read2_b64 v[13:16], v50 offset0:128 offset1:160
	s_waitcnt lgkmcnt(6)
	v_pk_fma_f16 v24, v20, v78, v24
	v_pk_fma_f16 v25, v21, v78, v25
	v_pk_fma_f16 v26, v22, v78, v26
	v_pk_fma_f16 v72, v23, v78, v67
	ds_read2_b64 v[20:23], v50 offset0:192 offset1:224
	s_waitcnt lgkmcnt(0)
	s_barrier
	buffer_gl0_inv
	v_pk_fma_f16 v73, v51, v78, v68
	v_pk_fma_f16 v74, v52, v78, v69
	;; [unrolled: 1-line block ×4, first 2 shown]
	s_clause 0x1
	global_load_dwordx4 v[51:54], v[17:18], off
	global_load_dwordx4 v[67:70], v[17:18], off offset:512
	v_mov_b32_e32 v17, v1
	v_mov_b32_e32 v1, v77
	v_pk_fma_f16 v18, v56, v79, v25
	v_pk_fma_f16 v25, v59, v79, v73
	v_pk_fma_f16 v56, v62, v79, v71
	s_waitcnt vmcnt(1)
	ds_write_b128 v41, v[51:54]
	s_waitcnt vmcnt(0)
	ds_write_b128 v42, v[67:70]
	v_fmac_f32_e32 v1, v17, v19
	v_pk_fma_f16 v17, v55, v79, v24
	v_pk_fma_f16 v19, v57, v79, v26
	;; [unrolled: 1-line block ×21, first 2 shown]
	s_waitcnt lgkmcnt(0)
	s_barrier
	buffer_gl0_inv
	ds_read_b128 v[9:12], v39 offset:112
	ds_read2_b64 v[13:16], v43 offset1:32
	ds_read2_b64 v[17:20], v43 offset0:64 offset1:96
	ds_read2_b64 v[21:24], v43 offset0:128 offset1:160
	;; [unrolled: 1-line block ×3, first 2 shown]
	ds_read2_b64 v[55:58], v48 offset1:32
	ds_read2_b64 v[59:62], v48 offset0:64 offset1:96
	ds_read2_b64 v[63:66], v48 offset0:128 offset1:160
	;; [unrolled: 1-line block ×3, first 2 shown]
	s_waitcnt lgkmcnt(8)
	v_mul_u32_u24_sdwa v77, v9, v47 dst_sel:DWORD dst_unused:UNUSED_PAD src0_sel:WORD_0 src1_sel:DWORD
	v_mul_u32_u24_sdwa v9, v9, v47 dst_sel:DWORD dst_unused:UNUSED_PAD src0_sel:WORD_1 src1_sel:DWORD
	v_mul_u32_u24_sdwa v78, v11, v47 dst_sel:DWORD dst_unused:UNUSED_PAD src0_sel:WORD_0 src1_sel:DWORD
	v_mul_u32_u24_sdwa v79, v11, v47 dst_sel:DWORD dst_unused:UNUSED_PAD src0_sel:WORD_1 src1_sel:DWORD
	v_mul_u32_u24_sdwa v80, v12, v47 dst_sel:DWORD dst_unused:UNUSED_PAD src0_sel:WORD_0 src1_sel:DWORD
	s_waitcnt lgkmcnt(7)
	v_pk_fma_f16 v25, v13, v77, v25
	v_pk_fma_f16 v26, v14, v77, v26
	;; [unrolled: 1-line block ×4, first 2 shown]
	s_waitcnt lgkmcnt(6)
	v_pk_fma_f16 v73, v17, v77, v73
	v_pk_fma_f16 v74, v18, v77, v74
	v_pk_fma_f16 v75, v19, v77, v75
	v_pk_fma_f16 v76, v20, v77, v76
	ds_read2_b64 v[13:16], v49 offset1:32
	ds_read2_b64 v[17:20], v49 offset0:64 offset1:96
	s_waitcnt lgkmcnt(7)
	v_pk_fma_f16 v25, v21, v9, v25
	v_pk_fma_f16 v26, v22, v9, v26
	v_pk_fma_f16 v71, v23, v9, v71
	v_pk_fma_f16 v72, v24, v9, v72
	s_waitcnt lgkmcnt(6)
	v_pk_fma_f16 v73, v51, v9, v73
	v_pk_fma_f16 v74, v52, v9, v74
	;; [unrolled: 1-line block ×4, first 2 shown]
	v_mul_u32_u24_sdwa v76, v10, v47 dst_sel:DWORD dst_unused:UNUSED_PAD src0_sel:WORD_0 src1_sel:DWORD
	ds_read2_b64 v[21:24], v49 offset0:128 offset1:160
	ds_read2_b64 v[51:54], v49 offset0:192 offset1:224
	v_mul_u32_u24_sdwa v77, v10, v47 dst_sel:DWORD dst_unused:UNUSED_PAD src0_sel:WORD_1 src1_sel:DWORD
	v_mul_u32_u24_sdwa v81, v12, v47 dst_sel:DWORD dst_unused:UNUSED_PAD src0_sel:WORD_1 src1_sel:DWORD
	s_waitcnt lgkmcnt(7)
	v_pk_fma_f16 v25, v55, v76, v25
	v_pk_fma_f16 v26, v56, v76, v26
	;; [unrolled: 1-line block ×4, first 2 shown]
	ds_read2_b64 v[55:58], v50 offset1:32
	s_waitcnt lgkmcnt(7)
	v_pk_fma_f16 v73, v59, v76, v73
	v_pk_fma_f16 v74, v60, v76, v74
	;; [unrolled: 1-line block ×4, first 2 shown]
	ds_read2_b64 v[9:12], v50 offset0:64 offset1:96
	s_waitcnt lgkmcnt(7)
	v_pk_fma_f16 v25, v63, v77, v25
	v_pk_fma_f16 v26, v64, v77, v26
	;; [unrolled: 1-line block ×4, first 2 shown]
	ds_read2_b64 v[59:62], v50 offset0:128 offset1:160
	ds_read2_b64 v[63:66], v50 offset0:192 offset1:224
	s_waitcnt lgkmcnt(0)
	s_barrier
	buffer_gl0_inv
	s_load_dword s0, s[6:7], 0x4
	v_pk_fma_f16 v67, v67, v77, v73
	v_pk_fma_f16 v68, v68, v77, v74
	;; [unrolled: 1-line block ×28, first 2 shown]
	s_waitcnt lgkmcnt(0)
	s_lshl_b32 s0, s0, 6
	v_pk_fma_f16 v55, v59, v81, v13
	v_pk_fma_f16 v57, v60, v81, v14
	;; [unrolled: 1-line block ×8, first 2 shown]
	s_add_i32 s14, s0, s14
	s_cmp_ge_i32 s14, s30
	s_cbranch_scc0 .LBB17_11
; %bb.12:
	v_mov_b32_e32 v3, 32
	v_mov_b32_e32 v4, v30
.LBB17_13:
	v_cmp_lt_i32_e32 vcc_lo, v35, v3
	s_cmp_lg_u64 s[16:17], 0
	s_cselect_b32 s0, -1, 0
	s_cmp_eq_u32 s28, 0
	v_cndmask_b32_e32 v5, v4, v35, vcc_lo
	v_cmp_lt_i32_e32 vcc_lo, v34, v3
	s_cselect_b32 s1, -1, 0
	s_and_b32 s0, s1, s0
	v_lshlrev_b32_e32 v5, 2, v5
	v_cndmask_b32_e32 v6, v4, v34, vcc_lo
	v_cmp_lt_i32_e32 vcc_lo, v33, v3
	ds_bpermute_b32 v5, v5, v1
	v_lshlrev_b32_e32 v6, 2, v6
	s_waitcnt lgkmcnt(0)
	v_add_f32_e32 v1, v1, v5
	ds_bpermute_b32 v5, v6, v1
	v_cndmask_b32_e32 v6, v4, v33, vcc_lo
	v_cmp_lt_i32_e32 vcc_lo, v32, v3
	v_lshlrev_b32_e32 v6, 2, v6
	s_waitcnt lgkmcnt(0)
	v_add_f32_e32 v1, v1, v5
	ds_bpermute_b32 v5, v6, v1
	v_cndmask_b32_e32 v6, v4, v32, vcc_lo
	v_cmp_lt_i32_e32 vcc_lo, v31, v3
	v_lshlrev_b32_e32 v6, 2, v6
	v_cndmask_b32_e32 v3, v4, v31, vcc_lo
	s_and_b32 vcc_lo, exec_lo, s0
	v_lshlrev_b32_e32 v3, 2, v3
	s_waitcnt lgkmcnt(0)
	v_add_f32_e32 v1, v1, v5
	ds_bpermute_b32 v5, v6, v1
	s_waitcnt lgkmcnt(0)
	v_add_f32_e32 v1, v1, v5
	ds_bpermute_b32 v3, v3, v1
	s_waitcnt lgkmcnt(0)
	v_add_f32_e32 v9, v1, v3
	s_cbranch_vccz .LBB17_15
; %bb.14:
	v_add_nc_u32_e32 v3, s33, v27
	v_ashrrev_i32_e32 v4, 31, v3
	v_lshlrev_b64 v[3:4], 2, v[3:4]
	v_add_co_u32 v3, vcc_lo, s16, v3
	v_add_co_ci_u32_e64 v4, null, s17, v4, vcc_lo
	global_load_dword v1, v[3:4], off
	v_max_f32_e32 v3, v8, v8
	s_waitcnt vmcnt(0)
	v_max_f32_e32 v4, v1, v1
	v_max_f32_e32 v3, v3, v4
	v_sub_f32_e32 v4, v8, v3
	v_sub_f32_e32 v1, v1, v3
	v_mul_f32_e32 v5, 0x3fb8aa3b, v4
	v_mul_f32_e32 v6, 0x3fb8aa3b, v1
	v_cmp_ngt_f32_e32 vcc_lo, 0xc2ce8ed0, v4
	v_fma_f32 v7, 0x3fb8aa3b, v4, -v5
	v_rndne_f32_e32 v8, v5
	v_fma_f32 v10, 0x3fb8aa3b, v1, -v6
	v_rndne_f32_e32 v11, v6
	v_fmac_f32_e32 v7, 0x32a5705f, v4
	v_sub_f32_e32 v5, v5, v8
	v_fmac_f32_e32 v10, 0x32a5705f, v1
	v_sub_f32_e32 v6, v6, v11
	v_add_f32_e32 v5, v5, v7
	v_cvt_i32_f32_e32 v7, v8
	v_add_f32_e32 v6, v6, v10
	v_cvt_i32_f32_e32 v8, v11
	v_exp_f32_e32 v5, v5
	v_exp_f32_e32 v6, v6
	v_ldexp_f32 v5, v5, v7
	v_ldexp_f32 v6, v6, v8
	v_mov_b32_e32 v8, v3
	v_cndmask_b32_e32 v5, 0, v5, vcc_lo
	v_cmp_ngt_f32_e32 vcc_lo, 0xc2ce8ed0, v1
	v_cndmask_b32_e32 v6, 0, v6, vcc_lo
	v_cmp_nlt_f32_e32 vcc_lo, 0x42b17218, v4
	v_cndmask_b32_e32 v4, 0x7f800000, v5, vcc_lo
	v_cmp_nlt_f32_e32 vcc_lo, 0x42b17218, v1
	v_mov_b32_e32 v5, 0x10001
	v_cndmask_b32_e32 v1, 0x7f800000, v6, vcc_lo
	v_cvt_f16_f32_e32 v6, v4
	v_fmac_f32_e32 v1, v9, v4
	v_mul_u32_u24_sdwa v4, v6, v5 dst_sel:DWORD dst_unused:UNUSED_PAD src0_sel:WORD_0 src1_sel:DWORD
	v_mov_b32_e32 v9, v1
	v_pk_mul_f16 v55, v55, v4
	v_pk_mul_f16 v57, v57, v4
	;; [unrolled: 1-line block ×8, first 2 shown]
.LBB17_15:
	s_mov_b32 s0, exec_lo
	v_cmpx_gt_i32_e64 s2, v2
	s_cbranch_execz .LBB17_18
; %bb.16:
	v_div_scale_f32 v3, null, v9, v9, 1.0
	s_load_dword s1, s[4:5], 0xd4
	v_div_scale_f32 v7, vcc_lo, 1.0, v9, 1.0
	v_rcp_f32_e32 v4, v3
	v_mad_u64_u32 v[1:2], null, s29, s2, v[2:3]
	v_cmp_eq_u32_e64 s0, 0, v0
	v_mov_b32_e32 v6, 0
	v_cvt_f32_f16_sdwa v10, v57 dst_sel:DWORD dst_unused:UNUSED_PAD src0_sel:WORD_1
	v_cvt_f32_f16_e32 v11, v57
	v_cvt_f32_f16_sdwa v18, v56 dst_sel:DWORD dst_unused:UNUSED_PAD src0_sel:WORD_1
	v_cvt_f32_f16_e32 v19, v56
	v_mul_lo_u32 v1, v1, s3
	v_fma_f32 v2, -v3, v4, 1.0
	v_mov_b32_e32 v15, v6
	v_cvt_f32_f16_sdwa v26, v53 dst_sel:DWORD dst_unused:UNUSED_PAD src0_sel:WORD_1
	v_cvt_f32_f16_sdwa v12, v55 dst_sel:DWORD dst_unused:UNUSED_PAD src0_sel:WORD_1
	v_cvt_f32_f16_e32 v13, v55
	v_fmac_f32_e32 v4, v2, v4
	v_mov_b32_e32 v2, v6
	v_add3_u32 v0, s33, v27, v1
	s_waitcnt lgkmcnt(0)
	s_cmp_lg_u32 s1, 1
	v_cvt_f32_f16_e32 v27, v53
	v_mul_f32_e32 v14, v7, v4
	v_cvt_f32_f16_sdwa v16, v58 dst_sel:DWORD dst_unused:UNUSED_PAD src0_sel:WORD_1
	v_mad_u64_u32 v[0:1], null, s1, v0, s[28:29]
	s_cselect_b32 s1, -1, 0
	v_fma_f32 v1, -v3, v14, v7
	v_cvt_f32_f16_e32 v17, v58
	v_cvt_f32_f16_sdwa v20, v54 dst_sel:DWORD dst_unused:UNUSED_PAD src0_sel:WORD_1
	v_cvt_f32_f16_e32 v21, v54
	v_cvt_f32_f16_e32 v29, v52
	v_fmac_f32_e32 v14, v1, v4
	v_lshl_add_u32 v5, v0, 9, v28
	v_cvt_f32_f16_sdwa v28, v52 dst_sel:DWORD dst_unused:UNUSED_PAD src0_sel:WORD_1
	s_and_b32 s0, s0, s1
	v_fma_f32 v3, -v3, v14, v7
	v_add_nc_u32_e32 v1, 0x80, v5
	v_div_fmas_f32 v7, v3, v4, v14
	v_lshlrev_b64 v[3:4], 2, v[5:6]
	v_add_nc_u32_e32 v14, 0x100, v5
	v_lshlrev_b64 v[1:2], 2, v[1:2]
	v_add_nc_u32_e32 v5, 0x180, v5
	v_div_fixup_f32 v7, v7, v9, 1.0
	v_add_co_u32 v22, vcc_lo, s20, v3
	v_add_co_ci_u32_e64 v23, null, s21, v4, vcc_lo
	v_cndmask_b32_e64 v7, v7, 1.0, s1
	v_add_co_u32 v24, vcc_lo, s20, v1
	v_lshlrev_b64 v[5:6], 2, v[5:6]
	v_add_co_ci_u32_e64 v25, null, s21, v2, vcc_lo
	v_mul_f32_e32 v4, v7, v10
	v_mul_f32_e32 v3, v7, v11
	;; [unrolled: 1-line block ×4, first 2 shown]
	v_lshlrev_b64 v[18:19], 2, v[14:15]
	v_mul_f32_e32 v15, v7, v26
	v_mul_f32_e32 v14, v7, v27
	;; [unrolled: 1-line block ×5, first 2 shown]
	v_add_co_u32 v26, vcc_lo, s20, v18
	v_add_co_ci_u32_e64 v27, null, s21, v19, vcc_lo
	v_cvt_f32_f16_sdwa v18, v51 dst_sel:DWORD dst_unused:UNUSED_PAD src0_sel:WORD_1
	v_cvt_f32_f16_e32 v19, v51
	v_mul_f32_e32 v12, v7, v17
	v_add_co_u32 v5, vcc_lo, s20, v5
	v_mul_f32_e32 v17, v7, v20
	v_mul_f32_e32 v16, v7, v21
	;; [unrolled: 1-line block ×6, first 2 shown]
	v_add_co_ci_u32_e64 v6, null, s21, v6, vcc_lo
	global_store_dwordx4 v[22:23], v[1:4], off
	global_store_dwordx4 v[24:25], v[10:13], off
	;; [unrolled: 1-line block ×4, first 2 shown]
	s_and_b32 exec_lo, exec_lo, s0
	s_cbranch_execz .LBB17_18
; %bb.17:
	v_ashrrev_i32_e32 v1, 31, v0
	v_lshlrev_b64 v[0:1], 3, v[0:1]
	v_add_co_u32 v0, vcc_lo, s22, v0
	v_add_co_ci_u32_e64 v1, null, s23, v1, vcc_lo
	global_store_dwordx2 v[0:1], v[8:9], off
.LBB17_18:
	s_endpgm
	.section	.rodata,"a",@progbits
	.p2align	6, 0x0
	.amdhsa_kernel _ZL15flash_attn_tileILi576ELi512ELi2ELi4ELb0EEvPKcS1_S1_S1_S1_PKiPfP15HIP_vector_typeIfLj2EEffffjfiS5_IjLj3EEiiiiiiiiiiiliiliiiiil
		.amdhsa_group_segment_fixed_size 19456
		.amdhsa_private_segment_fixed_size 0
		.amdhsa_kernarg_size 464
		.amdhsa_user_sgpr_count 6
		.amdhsa_user_sgpr_private_segment_buffer 1
		.amdhsa_user_sgpr_dispatch_ptr 0
		.amdhsa_user_sgpr_queue_ptr 0
		.amdhsa_user_sgpr_kernarg_segment_ptr 1
		.amdhsa_user_sgpr_dispatch_id 0
		.amdhsa_user_sgpr_flat_scratch_init 0
		.amdhsa_user_sgpr_private_segment_size 0
		.amdhsa_wavefront_size32 1
		.amdhsa_uses_dynamic_stack 0
		.amdhsa_system_sgpr_private_segment_wavefront_offset 0
		.amdhsa_system_sgpr_workgroup_id_x 1
		.amdhsa_system_sgpr_workgroup_id_y 1
		.amdhsa_system_sgpr_workgroup_id_z 1
		.amdhsa_system_sgpr_workgroup_info 0
		.amdhsa_system_vgpr_workitem_id 1
		.amdhsa_next_free_vgpr 82
		.amdhsa_next_free_sgpr 40
		.amdhsa_reserve_vcc 1
		.amdhsa_reserve_flat_scratch 0
		.amdhsa_float_round_mode_32 0
		.amdhsa_float_round_mode_16_64 0
		.amdhsa_float_denorm_mode_32 3
		.amdhsa_float_denorm_mode_16_64 3
		.amdhsa_dx10_clamp 1
		.amdhsa_ieee_mode 1
		.amdhsa_fp16_overflow 0
		.amdhsa_workgroup_processor_mode 1
		.amdhsa_memory_ordered 1
		.amdhsa_forward_progress 1
		.amdhsa_shared_vgpr_count 0
		.amdhsa_exception_fp_ieee_invalid_op 0
		.amdhsa_exception_fp_denorm_src 0
		.amdhsa_exception_fp_ieee_div_zero 0
		.amdhsa_exception_fp_ieee_overflow 0
		.amdhsa_exception_fp_ieee_underflow 0
		.amdhsa_exception_fp_ieee_inexact 0
		.amdhsa_exception_int_div_zero 0
	.end_amdhsa_kernel
	.section	.text._ZL15flash_attn_tileILi576ELi512ELi2ELi4ELb0EEvPKcS1_S1_S1_S1_PKiPfP15HIP_vector_typeIfLj2EEffffjfiS5_IjLj3EEiiiiiiiiiiiliiliiiiil,"axG",@progbits,_ZL15flash_attn_tileILi576ELi512ELi2ELi4ELb0EEvPKcS1_S1_S1_S1_PKiPfP15HIP_vector_typeIfLj2EEffffjfiS5_IjLj3EEiiiiiiiiiiiliiliiiiil,comdat
.Lfunc_end17:
	.size	_ZL15flash_attn_tileILi576ELi512ELi2ELi4ELb0EEvPKcS1_S1_S1_S1_PKiPfP15HIP_vector_typeIfLj2EEffffjfiS5_IjLj3EEiiiiiiiiiiiliiliiiiil, .Lfunc_end17-_ZL15flash_attn_tileILi576ELi512ELi2ELi4ELb0EEvPKcS1_S1_S1_S1_PKiPfP15HIP_vector_typeIfLj2EEffffjfiS5_IjLj3EEiiiiiiiiiiiliiliiiiil
                                        ; -- End function
	.set _ZL15flash_attn_tileILi576ELi512ELi2ELi4ELb0EEvPKcS1_S1_S1_S1_PKiPfP15HIP_vector_typeIfLj2EEffffjfiS5_IjLj3EEiiiiiiiiiiiliiliiiiil.num_vgpr, 82
	.set _ZL15flash_attn_tileILi576ELi512ELi2ELi4ELb0EEvPKcS1_S1_S1_S1_PKiPfP15HIP_vector_typeIfLj2EEffffjfiS5_IjLj3EEiiiiiiiiiiiliiliiiiil.num_agpr, 0
	.set _ZL15flash_attn_tileILi576ELi512ELi2ELi4ELb0EEvPKcS1_S1_S1_S1_PKiPfP15HIP_vector_typeIfLj2EEffffjfiS5_IjLj3EEiiiiiiiiiiiliiliiiiil.numbered_sgpr, 40
	.set _ZL15flash_attn_tileILi576ELi512ELi2ELi4ELb0EEvPKcS1_S1_S1_S1_PKiPfP15HIP_vector_typeIfLj2EEffffjfiS5_IjLj3EEiiiiiiiiiiiliiliiiiil.num_named_barrier, 0
	.set _ZL15flash_attn_tileILi576ELi512ELi2ELi4ELb0EEvPKcS1_S1_S1_S1_PKiPfP15HIP_vector_typeIfLj2EEffffjfiS5_IjLj3EEiiiiiiiiiiiliiliiiiil.private_seg_size, 0
	.set _ZL15flash_attn_tileILi576ELi512ELi2ELi4ELb0EEvPKcS1_S1_S1_S1_PKiPfP15HIP_vector_typeIfLj2EEffffjfiS5_IjLj3EEiiiiiiiiiiiliiliiiiil.uses_vcc, 1
	.set _ZL15flash_attn_tileILi576ELi512ELi2ELi4ELb0EEvPKcS1_S1_S1_S1_PKiPfP15HIP_vector_typeIfLj2EEffffjfiS5_IjLj3EEiiiiiiiiiiiliiliiiiil.uses_flat_scratch, 0
	.set _ZL15flash_attn_tileILi576ELi512ELi2ELi4ELb0EEvPKcS1_S1_S1_S1_PKiPfP15HIP_vector_typeIfLj2EEffffjfiS5_IjLj3EEiiiiiiiiiiiliiliiiiil.has_dyn_sized_stack, 0
	.set _ZL15flash_attn_tileILi576ELi512ELi2ELi4ELb0EEvPKcS1_S1_S1_S1_PKiPfP15HIP_vector_typeIfLj2EEffffjfiS5_IjLj3EEiiiiiiiiiiiliiliiiiil.has_recursion, 0
	.set _ZL15flash_attn_tileILi576ELi512ELi2ELi4ELb0EEvPKcS1_S1_S1_S1_PKiPfP15HIP_vector_typeIfLj2EEffffjfiS5_IjLj3EEiiiiiiiiiiiliiliiiiil.has_indirect_call, 0
	.section	.AMDGPU.csdata,"",@progbits
; Kernel info:
; codeLenInByte = 25168
; TotalNumSgprs: 42
; NumVgprs: 82
; ScratchSize: 0
; MemoryBound: 0
; FloatMode: 240
; IeeeMode: 1
; LDSByteSize: 19456 bytes/workgroup (compile time only)
; SGPRBlocks: 0
; VGPRBlocks: 10
; NumSGPRsForWavesPerEU: 42
; NumVGPRsForWavesPerEU: 82
; Occupancy: 10
; WaveLimiterHint : 1
; COMPUTE_PGM_RSRC2:SCRATCH_EN: 0
; COMPUTE_PGM_RSRC2:USER_SGPR: 6
; COMPUTE_PGM_RSRC2:TRAP_HANDLER: 0
; COMPUTE_PGM_RSRC2:TGID_X_EN: 1
; COMPUTE_PGM_RSRC2:TGID_Y_EN: 1
; COMPUTE_PGM_RSRC2:TGID_Z_EN: 1
; COMPUTE_PGM_RSRC2:TIDIG_COMP_CNT: 1
	.section	.text._ZL33flash_attn_stream_k_fixup_uniformILi512ELi2ELi4EEvPfPK15HIP_vector_typeIfLj2EEiiiiiiS1_IjLj3EES5_S5_,"axG",@progbits,_ZL33flash_attn_stream_k_fixup_uniformILi512ELi2ELi4EEvPfPK15HIP_vector_typeIfLj2EEiiiiiiS1_IjLj3EES5_S5_,comdat
	.globl	_ZL33flash_attn_stream_k_fixup_uniformILi512ELi2ELi4EEvPfPK15HIP_vector_typeIfLj2EEiiiiiiS1_IjLj3EES5_S5_ ; -- Begin function _ZL33flash_attn_stream_k_fixup_uniformILi512ELi2ELi4EEvPfPK15HIP_vector_typeIfLj2EEiiiiiiS1_IjLj3EES5_S5_
	.p2align	8
	.type	_ZL33flash_attn_stream_k_fixup_uniformILi512ELi2ELi4EEvPfPK15HIP_vector_typeIfLj2EEiiiiiiS1_IjLj3EES5_S5_,@function
_ZL33flash_attn_stream_k_fixup_uniformILi512ELi2ELi4EEvPfPK15HIP_vector_typeIfLj2EEiiiiiiS1_IjLj3EES5_S5_: ; @_ZL33flash_attn_stream_k_fixup_uniformILi512ELi2ELi4EEvPfPK15HIP_vector_typeIfLj2EEiiiiiiS1_IjLj3EES5_S5_
; %bb.0:
	s_clause 0x2
	s_load_dwordx8 s[12:19], s[4:5], 0x1c
	s_load_dwordx4 s[20:23], s[4:5], 0x3c
	s_load_dwordx2 s[10:11], s[4:5], 0x10
	s_waitcnt lgkmcnt(0)
	s_mul_hi_u32 s0, s15, s6
	s_add_i32 s0, s6, s0
	s_lshr_b32 s0, s0, s16
	s_mul_i32 s1, s0, s17
	s_sub_i32 s2, s6, s1
	s_mul_hi_u32 s1, s2, s18
	s_add_i32 s1, s2, s1
	s_lshr_b32 s1, s1, s19
	s_mul_i32 s3, s1, s20
	s_sub_i32 s2, s2, s3
	s_mul_hi_u32 s3, s2, s21
	s_add_i32 s3, s2, s3
	s_lshr_b32 s3, s3, s22
	s_mul_i32 s9, s3, s23
	s_lshl_b32 s15, s3, 2
	s_sub_i32 s9, s2, s9
	s_lshl_b32 s2, s9, 1
	s_add_i32 s2, s2, s7
	s_cmp_lt_i32 s2, s10
	s_cselect_b32 s2, -1, 0
	s_add_i32 s3, s15, s8
	s_cmp_lt_i32 s3, s13
	s_cselect_b32 s3, -1, 0
	s_and_b32 s2, s2, s3
	s_andn2_b32 vcc_lo, exec_lo, s2
	s_cbranch_vccnz .LBB18_6
; %bb.1:
	s_mul_i32 s0, s0, s10
	s_mul_i32 s10, s1, s13
	s_add_i32 s0, s0, s7
	s_mul_i32 s0, s0, s11
	s_add_i32 s13, s0, s8
	s_load_dwordx4 s[0:3], s[4:5], 0x0
	s_add_i32 s4, s13, s10
	s_mul_i32 s5, s11, s9
	s_add_i32 s4, s4, s15
	s_lshl_b32 s5, s5, 10
	s_lshl_b32 s4, s4, 9
	;; [unrolled: 1-line block ×3, first 2 shown]
	s_add_i32 s5, s5, s4
	s_mul_i32 s4, s14, s6
	v_or_b32_e32 v1, s5, v0
	s_add_i32 s11, s4, s14
	v_ashrrev_i32_e32 v2, 31, v1
	v_lshlrev_b64 v[1:2], 2, v[1:2]
	s_waitcnt lgkmcnt(0)
	v_add_co_u32 v1, vcc_lo, s0, v1
	v_add_co_ci_u32_e64 v2, null, s1, v2, vcc_lo
	s_add_i32 s0, s10, s8
	s_lshl_b32 s1, s11, 3
	s_add_i32 s0, s0, s1
	global_load_dword v5, v[1:2], off
	s_add_i32 s0, s0, -8
	s_ashr_i32 s1, s0, 31
	s_lshl_b64 s[0:1], s[0:1], 3
	s_add_u32 s0, s2, s0
	s_addc_u32 s1, s3, s1
	s_add_i32 s5, s11, -2
	s_load_dword s13, s[0:1], 0x4
	s_cmp_lt_i32 s5, s4
	s_cbranch_scc1 .LBB18_4
; %bb.2:
	s_lshl_b32 s16, s12, 5
	s_load_dword s15, s[0:1], 0x0
	s_ashr_i32 s17, s16, 31
	s_waitcnt lgkmcnt(0)
	v_mov_b32_e32 v6, s13
	s_lshl_b64 s[0:1], s[16:17], 2
	s_add_u32 s5, s2, s0
	s_addc_u32 s9, s3, s1
	s_add_i32 s6, s6, 1
	s_lshl_b32 s0, s7, 11
	s_lshl_b32 s1, s8, 9
	s_mul_i32 s6, s14, s6
	s_add_i32 s0, s1, s0
	s_lshl_b32 s1, s6, 12
	s_add_i32 s0, s0, s1
	s_lshl_b32 s1, s6, 3
	v_or_b32_e32 v0, s0, v0
	s_lshl_b32 s0, s12, 3
	s_add_i32 s1, s8, s1
	s_add_i32 s6, s11, -1
	s_add_i32 s0, s1, s0
	v_add_nc_u32_e32 v3, 0xffffe000, v0
	v_mov_b32_e32 v0, s15
	s_add_i32 s0, s0, s10
	s_add_i32 s0, s0, -16
.LBB18_3:                               ; =>This Inner Loop Header: Depth=1
	v_ashrrev_i32_e32 v4, 31, v3
	s_ashr_i32 s1, s0, 31
	s_lshl_b64 s[10:11], s[0:1], 3
	s_add_u32 s10, s2, s10
	v_lshlrev_b64 v[7:8], 2, v[3:4]
	s_addc_u32 s11, s3, s11
	v_add_nc_u32_e32 v3, 0xfffff000, v3
	s_add_i32 s6, s6, -1
	s_add_i32 s0, s0, -8
	s_cmp_le_i32 s6, s4
	v_add_co_u32 v7, vcc_lo, s5, v7
	v_add_co_ci_u32_e64 v8, null, s9, v8, vcc_lo
	s_load_dwordx2 s[10:11], s[10:11], 0x0
	global_load_dword v4, v[7:8], off
	v_max_f32_e32 v7, v0, v0
	s_waitcnt lgkmcnt(0)
	v_max_f32_e64 v8, s10, s10
	v_max_f32_e32 v7, v7, v8
	v_sub_f32_e32 v8, s10, v7
	v_sub_f32_e32 v0, v0, v7
	v_mul_f32_e32 v9, 0x3fb8aa3b, v8
	v_mul_f32_e32 v12, 0x3fb8aa3b, v0
	v_cmp_ngt_f32_e32 vcc_lo, 0xc2ce8ed0, v8
	v_fma_f32 v10, 0x3fb8aa3b, v8, -v9
	v_rndne_f32_e32 v11, v9
	v_fma_f32 v13, 0x3fb8aa3b, v0, -v12
	v_rndne_f32_e32 v14, v12
	v_fmac_f32_e32 v10, 0x32a5705f, v8
	v_sub_f32_e32 v9, v9, v11
	v_fmac_f32_e32 v13, 0x32a5705f, v0
	v_cvt_i32_f32_e32 v11, v11
	v_add_f32_e32 v9, v9, v10
	v_sub_f32_e32 v10, v12, v14
	v_exp_f32_e32 v9, v9
	v_add_f32_e32 v10, v10, v13
	v_exp_f32_e32 v10, v10
	v_ldexp_f32 v9, v9, v11
	v_cvt_i32_f32_e32 v11, v14
	v_cndmask_b32_e32 v9, 0, v9, vcc_lo
	v_cmp_nlt_f32_e32 vcc_lo, 0x42b17218, v8
	v_ldexp_f32 v10, v10, v11
	v_mov_b32_e32 v11, v6
	v_cndmask_b32_e32 v9, 0x7f800000, v9, vcc_lo
	v_cmp_ngt_f32_e32 vcc_lo, 0xc2ce8ed0, v0
	v_cndmask_b32_e32 v10, 0, v10, vcc_lo
	v_cmp_le_f32_e32 vcc_lo, 0xc1a00000, v8
	v_cndmask_b32_e32 v8, 0, v9, vcc_lo
	v_cmp_nlt_f32_e32 vcc_lo, 0x42b17218, v0
	s_waitcnt vmcnt(1)
	v_mov_b32_e32 v9, v5
	v_cndmask_b32_e32 v5, 0x7f800000, v10, vcc_lo
	v_mul_f32_e32 v10, s11, v8
	v_cmp_le_f32_e32 vcc_lo, 0xc1a00000, v0
	v_mov_b32_e32 v0, v7
	v_mov_b32_e32 v6, v10
	v_cndmask_b32_e32 v12, 0, v5, vcc_lo
	v_fmac_f32_e32 v6, v11, v12
	s_waitcnt vmcnt(0)
	v_mul_f32_e32 v5, v4, v8
	v_fmac_f32_e32 v5, v9, v12
	s_cbranch_scc0 .LBB18_3
	s_branch .LBB18_5
.LBB18_4:
	s_waitcnt lgkmcnt(0)
	v_mov_b32_e32 v6, s13
.LBB18_5:
	s_waitcnt vmcnt(0)
	v_div_scale_f32 v0, null, v6, v6, v5
	v_rcp_f32_e32 v3, v0
	v_fma_f32 v4, -v0, v3, 1.0
	v_fmac_f32_e32 v3, v4, v3
	v_div_scale_f32 v4, vcc_lo, v5, v6, v5
	v_mul_f32_e32 v7, v4, v3
	v_fma_f32 v8, -v0, v7, v4
	v_fmac_f32_e32 v7, v8, v3
	v_fma_f32 v0, -v0, v7, v4
	v_div_fmas_f32 v0, v0, v3, v7
	v_div_fixup_f32 v0, v0, v6, v5
	global_store_dword v[1:2], v0, off
.LBB18_6:
	s_endpgm
	.section	.rodata,"a",@progbits
	.p2align	6, 0x0
	.amdhsa_kernel _ZL33flash_attn_stream_k_fixup_uniformILi512ELi2ELi4EEvPfPK15HIP_vector_typeIfLj2EEiiiiiiS1_IjLj3EES5_S5_
		.amdhsa_group_segment_fixed_size 0
		.amdhsa_private_segment_fixed_size 0
		.amdhsa_kernarg_size 76
		.amdhsa_user_sgpr_count 6
		.amdhsa_user_sgpr_private_segment_buffer 1
		.amdhsa_user_sgpr_dispatch_ptr 0
		.amdhsa_user_sgpr_queue_ptr 0
		.amdhsa_user_sgpr_kernarg_segment_ptr 1
		.amdhsa_user_sgpr_dispatch_id 0
		.amdhsa_user_sgpr_flat_scratch_init 0
		.amdhsa_user_sgpr_private_segment_size 0
		.amdhsa_wavefront_size32 1
		.amdhsa_uses_dynamic_stack 0
		.amdhsa_system_sgpr_private_segment_wavefront_offset 0
		.amdhsa_system_sgpr_workgroup_id_x 1
		.amdhsa_system_sgpr_workgroup_id_y 1
		.amdhsa_system_sgpr_workgroup_id_z 1
		.amdhsa_system_sgpr_workgroup_info 0
		.amdhsa_system_vgpr_workitem_id 0
		.amdhsa_next_free_vgpr 15
		.amdhsa_next_free_sgpr 24
		.amdhsa_reserve_vcc 1
		.amdhsa_reserve_flat_scratch 0
		.amdhsa_float_round_mode_32 0
		.amdhsa_float_round_mode_16_64 0
		.amdhsa_float_denorm_mode_32 3
		.amdhsa_float_denorm_mode_16_64 3
		.amdhsa_dx10_clamp 1
		.amdhsa_ieee_mode 1
		.amdhsa_fp16_overflow 0
		.amdhsa_workgroup_processor_mode 1
		.amdhsa_memory_ordered 1
		.amdhsa_forward_progress 1
		.amdhsa_shared_vgpr_count 0
		.amdhsa_exception_fp_ieee_invalid_op 0
		.amdhsa_exception_fp_denorm_src 0
		.amdhsa_exception_fp_ieee_div_zero 0
		.amdhsa_exception_fp_ieee_overflow 0
		.amdhsa_exception_fp_ieee_underflow 0
		.amdhsa_exception_fp_ieee_inexact 0
		.amdhsa_exception_int_div_zero 0
	.end_amdhsa_kernel
	.section	.text._ZL33flash_attn_stream_k_fixup_uniformILi512ELi2ELi4EEvPfPK15HIP_vector_typeIfLj2EEiiiiiiS1_IjLj3EES5_S5_,"axG",@progbits,_ZL33flash_attn_stream_k_fixup_uniformILi512ELi2ELi4EEvPfPK15HIP_vector_typeIfLj2EEiiiiiiS1_IjLj3EES5_S5_,comdat
.Lfunc_end18:
	.size	_ZL33flash_attn_stream_k_fixup_uniformILi512ELi2ELi4EEvPfPK15HIP_vector_typeIfLj2EEiiiiiiS1_IjLj3EES5_S5_, .Lfunc_end18-_ZL33flash_attn_stream_k_fixup_uniformILi512ELi2ELi4EEvPfPK15HIP_vector_typeIfLj2EEiiiiiiS1_IjLj3EES5_S5_
                                        ; -- End function
	.set _ZL33flash_attn_stream_k_fixup_uniformILi512ELi2ELi4EEvPfPK15HIP_vector_typeIfLj2EEiiiiiiS1_IjLj3EES5_S5_.num_vgpr, 15
	.set _ZL33flash_attn_stream_k_fixup_uniformILi512ELi2ELi4EEvPfPK15HIP_vector_typeIfLj2EEiiiiiiS1_IjLj3EES5_S5_.num_agpr, 0
	.set _ZL33flash_attn_stream_k_fixup_uniformILi512ELi2ELi4EEvPfPK15HIP_vector_typeIfLj2EEiiiiiiS1_IjLj3EES5_S5_.numbered_sgpr, 24
	.set _ZL33flash_attn_stream_k_fixup_uniformILi512ELi2ELi4EEvPfPK15HIP_vector_typeIfLj2EEiiiiiiS1_IjLj3EES5_S5_.num_named_barrier, 0
	.set _ZL33flash_attn_stream_k_fixup_uniformILi512ELi2ELi4EEvPfPK15HIP_vector_typeIfLj2EEiiiiiiS1_IjLj3EES5_S5_.private_seg_size, 0
	.set _ZL33flash_attn_stream_k_fixup_uniformILi512ELi2ELi4EEvPfPK15HIP_vector_typeIfLj2EEiiiiiiS1_IjLj3EES5_S5_.uses_vcc, 1
	.set _ZL33flash_attn_stream_k_fixup_uniformILi512ELi2ELi4EEvPfPK15HIP_vector_typeIfLj2EEiiiiiiS1_IjLj3EES5_S5_.uses_flat_scratch, 0
	.set _ZL33flash_attn_stream_k_fixup_uniformILi512ELi2ELi4EEvPfPK15HIP_vector_typeIfLj2EEiiiiiiS1_IjLj3EES5_S5_.has_dyn_sized_stack, 0
	.set _ZL33flash_attn_stream_k_fixup_uniformILi512ELi2ELi4EEvPfPK15HIP_vector_typeIfLj2EEiiiiiiS1_IjLj3EES5_S5_.has_recursion, 0
	.set _ZL33flash_attn_stream_k_fixup_uniformILi512ELi2ELi4EEvPfPK15HIP_vector_typeIfLj2EEiiiiiiS1_IjLj3EES5_S5_.has_indirect_call, 0
	.section	.AMDGPU.csdata,"",@progbits
; Kernel info:
; codeLenInByte = 848
; TotalNumSgprs: 26
; NumVgprs: 15
; ScratchSize: 0
; MemoryBound: 0
; FloatMode: 240
; IeeeMode: 1
; LDSByteSize: 0 bytes/workgroup (compile time only)
; SGPRBlocks: 0
; VGPRBlocks: 1
; NumSGPRsForWavesPerEU: 26
; NumVGPRsForWavesPerEU: 15
; Occupancy: 16
; WaveLimiterHint : 0
; COMPUTE_PGM_RSRC2:SCRATCH_EN: 0
; COMPUTE_PGM_RSRC2:USER_SGPR: 6
; COMPUTE_PGM_RSRC2:TRAP_HANDLER: 0
; COMPUTE_PGM_RSRC2:TGID_X_EN: 1
; COMPUTE_PGM_RSRC2:TGID_Y_EN: 1
; COMPUTE_PGM_RSRC2:TGID_Z_EN: 1
; COMPUTE_PGM_RSRC2:TIDIG_COMP_CNT: 0
	.section	.text._ZL33flash_attn_stream_k_fixup_generalILi512ELi2ELi4EEvPfPK15HIP_vector_typeIfLj2EEiiiiS1_IjLj3EES5_S5_S5_,"axG",@progbits,_ZL33flash_attn_stream_k_fixup_generalILi512ELi2ELi4EEvPfPK15HIP_vector_typeIfLj2EEiiiiS1_IjLj3EES5_S5_S5_,comdat
	.globl	_ZL33flash_attn_stream_k_fixup_generalILi512ELi2ELi4EEvPfPK15HIP_vector_typeIfLj2EEiiiiS1_IjLj3EES5_S5_S5_ ; -- Begin function _ZL33flash_attn_stream_k_fixup_generalILi512ELi2ELi4EEvPfPK15HIP_vector_typeIfLj2EEiiiiS1_IjLj3EES5_S5_S5_
	.p2align	8
	.type	_ZL33flash_attn_stream_k_fixup_generalILi512ELi2ELi4EEvPfPK15HIP_vector_typeIfLj2EEiiiiS1_IjLj3EES5_S5_S5_,@function
_ZL33flash_attn_stream_k_fixup_generalILi512ELi2ELi4EEvPfPK15HIP_vector_typeIfLj2EEiiiiS1_IjLj3EES5_S5_S5_: ; @_ZL33flash_attn_stream_k_fixup_generalILi512ELi2ELi4EEvPfPK15HIP_vector_typeIfLj2EEiiiiS1_IjLj3EES5_S5_S5_
; %bb.0:
	s_clause 0x1
	s_load_dwordx4 s[0:3], s[4:5], 0x10
	s_load_dword s9, s[4:5], 0x50
	s_mov_b32 s16, 0
	s_waitcnt lgkmcnt(0)
	s_mul_hi_i32 s17, s3, s6
	s_mul_i32 s18, s3, s6
	s_cmp_lg_u64 s[16:17], 0
	s_cbranch_scc0 .LBB19_21
; %bb.1:
	s_add_u32 s10, s9, 0
	s_addc_u32 s11, 0, 0
	s_xor_b64 s[10:11], s[10:11], 0
	v_cvt_f32_u32_e32 v1, s10
	v_cvt_f32_u32_e32 v2, s11
	s_sub_u32 s14, 0, s10
	s_subb_u32 s15, 0, s11
	v_fmamk_f32 v1, v2, 0x4f800000, v1
	v_rcp_f32_e32 v1, v1
	v_mul_f32_e32 v1, 0x5f7ffffc, v1
	v_mul_f32_e32 v2, 0x2f800000, v1
	v_trunc_f32_e32 v2, v2
	v_fmamk_f32 v1, v2, 0xcf800000, v1
	v_cvt_u32_f32_e32 v2, v2
	v_cvt_u32_f32_e32 v1, v1
	v_readfirstlane_b32 s12, v2
	v_readfirstlane_b32 s13, v1
	s_mul_i32 s19, s14, s12
	s_mul_hi_u32 s21, s14, s13
	s_mul_i32 s20, s15, s13
	s_add_i32 s19, s21, s19
	s_mul_i32 s22, s14, s13
	s_add_i32 s19, s19, s20
	s_mul_hi_u32 s21, s13, s22
	s_mul_i32 s24, s13, s19
	s_mul_hi_u32 s23, s12, s22
	s_mul_i32 s20, s12, s22
	s_mul_hi_u32 s22, s13, s19
	s_add_u32 s21, s21, s24
	s_addc_u32 s22, 0, s22
	s_mul_hi_u32 s25, s12, s19
	s_add_u32 s20, s21, s20
	s_mul_i32 s19, s12, s19
	s_addc_u32 s20, s22, s23
	s_addc_u32 s21, s25, 0
	s_add_u32 s19, s20, s19
	s_addc_u32 s20, 0, s21
	s_add_u32 s13, s13, s19
	s_cselect_b32 s19, -1, 0
	s_mul_hi_u32 s21, s14, s13
	s_cmp_lg_u32 s19, 0
	s_mul_i32 s19, s14, s13
	s_addc_u32 s12, s12, s20
	s_mul_i32 s15, s15, s13
	s_mul_i32 s14, s14, s12
	s_mul_hi_u32 s20, s13, s19
	s_add_i32 s14, s21, s14
	s_mul_hi_u32 s21, s12, s19
	s_add_i32 s14, s14, s15
	s_mul_i32 s15, s12, s19
	s_mul_i32 s23, s13, s14
	s_mul_hi_u32 s22, s13, s14
	s_add_u32 s20, s20, s23
	s_addc_u32 s22, 0, s22
	s_mul_hi_u32 s19, s12, s14
	s_add_u32 s15, s20, s15
	s_mul_i32 s14, s12, s14
	s_addc_u32 s15, s22, s21
	s_addc_u32 s19, s19, 0
	s_add_u32 s14, s15, s14
	s_addc_u32 s15, 0, s19
	s_add_u32 s19, s13, s14
	s_cselect_b32 s13, -1, 0
	s_cmp_lg_u32 s13, 0
	s_addc_u32 s20, s12, s15
	s_ashr_i32 s12, s17, 31
	s_add_u32 s14, s18, s12
	s_mov_b32 s13, s12
	s_addc_u32 s15, s17, s12
	s_xor_b64 s[14:15], s[14:15], s[12:13]
	s_mul_i32 s21, s14, s20
	s_mul_hi_u32 s22, s14, s19
	s_mul_hi_u32 s17, s14, s20
	s_mul_hi_u32 s24, s15, s19
	s_mul_i32 s19, s15, s19
	s_add_u32 s21, s22, s21
	s_addc_u32 s17, 0, s17
	s_mul_hi_u32 s23, s15, s20
	s_add_u32 s19, s21, s19
	s_mul_i32 s20, s15, s20
	s_addc_u32 s17, s17, s24
	s_addc_u32 s19, s23, 0
	s_add_u32 s17, s17, s20
	s_addc_u32 s19, 0, s19
	s_mul_hi_u32 s20, s10, s17
	s_mul_i32 s21, s10, s19
	s_mul_i32 s22, s11, s17
	s_add_i32 s20, s20, s21
	s_mul_i32 s21, s10, s17
	s_add_i32 s20, s20, s22
	s_sub_i32 s22, s15, s20
	s_sub_u32 s14, s14, s21
	s_cselect_b32 s21, -1, 0
	s_cmp_lg_u32 s21, 0
	s_subb_u32 s22, s22, s11
	s_sub_u32 s23, s14, s10
	s_cselect_b32 s24, -1, 0
	s_cmp_lg_u32 s24, 0
	s_subb_u32 s22, s22, 0
	s_cmp_ge_u32 s22, s11
	s_cselect_b32 s24, -1, 0
	s_cmp_ge_u32 s23, s10
	s_cselect_b32 s23, -1, 0
	s_cmp_eq_u32 s22, s11
	s_cselect_b32 s22, s23, s24
	s_add_u32 s23, s17, 1
	s_addc_u32 s24, s19, 0
	s_add_u32 s25, s17, 2
	s_addc_u32 s26, s19, 0
	s_cmp_lg_u32 s22, 0
	s_cselect_b32 s22, s25, s23
	s_cselect_b32 s23, s26, s24
	s_cmp_lg_u32 s21, 0
	s_subb_u32 s15, s15, s20
	s_cmp_ge_u32 s15, s11
	s_cselect_b32 s20, -1, 0
	s_cmp_ge_u32 s14, s10
	s_cselect_b32 s10, -1, 0
	s_cmp_eq_u32 s15, s11
	s_cselect_b32 s10, s10, s20
	s_cmp_lg_u32 s10, 0
	s_cselect_b32 s11, s23, s19
	s_cselect_b32 s10, s22, s17
	s_xor_b64 s[12:13], s[12:13], 0
	s_xor_b64 s[10:11], s[10:11], s[12:13]
	s_sub_u32 s10, s10, s12
	s_load_dwordx4 s[12:15], s[4:5], 0x44
	s_andn2_b32 vcc_lo, exec_lo, s16
	s_cbranch_vccnz .LBB19_3
.LBB19_2:
	v_cvt_f32_u32_e32 v1, s9
	s_sub_i32 s11, 0, s9
	v_rcp_iflag_f32_e32 v1, v1
	v_mul_f32_e32 v1, 0x4f7ffffe, v1
	v_cvt_u32_f32_e32 v1, v1
	v_readfirstlane_b32 s10, v1
	s_mul_i32 s11, s11, s10
	s_mul_hi_u32 s11, s10, s11
	s_add_i32 s10, s10, s11
	s_mul_hi_u32 s10, s18, s10
	s_mul_i32 s11, s10, s9
	s_waitcnt lgkmcnt(0)
	s_add_i32 s15, s10, 1
	s_sub_i32 s11, s18, s11
	s_sub_i32 s16, s11, s9
	s_cmp_ge_u32 s11, s9
	s_cselect_b32 s10, s15, s10
	s_cselect_b32 s11, s16, s11
	s_add_i32 s15, s10, 1
	s_cmp_ge_u32 s11, s9
	s_cselect_b32 s10, s15, s10
.LBB19_3:
	s_add_i32 s11, s6, 1
	s_mov_b32 s16, 0
	s_mul_hi_i32 s17, s3, s11
	s_mul_i32 s11, s3, s11
	s_cmp_lg_u64 s[16:17], 0
	s_cbranch_scc0 .LBB19_22
; %bb.4:
	s_add_u32 s18, s9, 0
	s_addc_u32 s19, 0, 0
	s_xor_b64 s[18:19], s[18:19], 0
	v_cvt_f32_u32_e32 v1, s18
	v_cvt_f32_u32_e32 v2, s19
	s_sub_u32 s21, 0, s18
	s_subb_u32 s22, 0, s19
	v_fmamk_f32 v1, v2, 0x4f800000, v1
	v_rcp_f32_e32 v1, v1
	v_mul_f32_e32 v1, 0x5f7ffffc, v1
	v_mul_f32_e32 v2, 0x2f800000, v1
	v_trunc_f32_e32 v2, v2
	v_fmamk_f32 v1, v2, 0xcf800000, v1
	v_cvt_u32_f32_e32 v2, v2
	v_cvt_u32_f32_e32 v1, v1
	s_waitcnt lgkmcnt(0)
	v_readfirstlane_b32 s15, v2
	v_readfirstlane_b32 s20, v1
	s_mul_i32 s23, s21, s15
	s_mul_hi_u32 s25, s21, s20
	s_mul_i32 s24, s22, s20
	s_add_i32 s23, s25, s23
	s_mul_i32 s26, s21, s20
	s_add_i32 s23, s23, s24
	s_mul_hi_u32 s25, s20, s26
	s_mul_i32 s28, s20, s23
	s_mul_hi_u32 s27, s15, s26
	s_mul_i32 s24, s15, s26
	s_mul_hi_u32 s26, s20, s23
	s_add_u32 s25, s25, s28
	s_addc_u32 s26, 0, s26
	s_mul_hi_u32 s29, s15, s23
	s_add_u32 s24, s25, s24
	s_mul_i32 s23, s15, s23
	s_addc_u32 s24, s26, s27
	s_addc_u32 s25, s29, 0
	s_add_u32 s23, s24, s23
	s_addc_u32 s24, 0, s25
	s_add_u32 s20, s20, s23
	s_cselect_b32 s23, -1, 0
	s_mul_hi_u32 s25, s21, s20
	s_cmp_lg_u32 s23, 0
	s_mul_i32 s23, s21, s20
	s_addc_u32 s15, s15, s24
	s_mul_i32 s22, s22, s20
	s_mul_i32 s21, s21, s15
	s_mul_hi_u32 s24, s20, s23
	s_add_i32 s21, s25, s21
	s_mul_hi_u32 s25, s15, s23
	s_add_i32 s21, s21, s22
	s_mul_i32 s22, s15, s23
	s_mul_i32 s27, s20, s21
	s_mul_hi_u32 s26, s20, s21
	s_add_u32 s24, s24, s27
	s_addc_u32 s26, 0, s26
	s_mul_hi_u32 s23, s15, s21
	s_add_u32 s22, s24, s22
	s_mul_i32 s21, s15, s21
	s_addc_u32 s22, s26, s25
	s_addc_u32 s23, s23, 0
	s_add_u32 s21, s22, s21
	s_addc_u32 s22, 0, s23
	s_add_u32 s24, s20, s21
	s_cselect_b32 s20, -1, 0
	s_cmp_lg_u32 s20, 0
	s_addc_u32 s15, s15, s22
	s_ashr_i32 s20, s17, 31
	s_add_u32 s22, s11, s20
	s_mov_b32 s21, s20
	s_addc_u32 s23, s17, s20
	s_xor_b64 s[22:23], s[22:23], s[20:21]
	s_mul_i32 s25, s22, s15
	s_mul_hi_u32 s26, s22, s24
	s_mul_hi_u32 s17, s22, s15
	;; [unrolled: 1-line block ×3, first 2 shown]
	s_mul_i32 s24, s23, s24
	s_add_u32 s25, s26, s25
	s_addc_u32 s17, 0, s17
	s_mul_hi_u32 s27, s23, s15
	s_add_u32 s24, s25, s24
	s_mul_i32 s15, s23, s15
	s_addc_u32 s17, s17, s28
	s_addc_u32 s24, s27, 0
	s_add_u32 s15, s17, s15
	s_addc_u32 s17, 0, s24
	s_mul_hi_u32 s24, s18, s15
	s_mul_i32 s25, s18, s17
	s_mul_i32 s26, s19, s15
	s_add_i32 s24, s24, s25
	s_mul_i32 s25, s18, s15
	s_add_i32 s24, s24, s26
	s_sub_i32 s26, s23, s24
	s_sub_u32 s22, s22, s25
	s_cselect_b32 s25, -1, 0
	s_cmp_lg_u32 s25, 0
	s_subb_u32 s26, s26, s19
	s_sub_u32 s27, s22, s18
	s_cselect_b32 s28, -1, 0
	s_cmp_lg_u32 s28, 0
	s_subb_u32 s26, s26, 0
	s_cmp_ge_u32 s26, s19
	s_cselect_b32 s28, -1, 0
	s_cmp_ge_u32 s27, s18
	s_cselect_b32 s27, -1, 0
	s_cmp_eq_u32 s26, s19
	s_cselect_b32 s26, s27, s28
	s_add_u32 s27, s15, 1
	s_addc_u32 s28, s17, 0
	s_add_u32 s29, s15, 2
	s_addc_u32 s30, s17, 0
	s_cmp_lg_u32 s26, 0
	s_cselect_b32 s26, s29, s27
	s_cselect_b32 s27, s30, s28
	s_cmp_lg_u32 s25, 0
	s_subb_u32 s23, s23, s24
	s_cmp_ge_u32 s23, s19
	s_cselect_b32 s24, -1, 0
	s_cmp_ge_u32 s22, s18
	s_cselect_b32 s18, -1, 0
	s_cmp_eq_u32 s23, s19
	s_cselect_b32 s18, s18, s24
	s_cmp_lg_u32 s18, 0
	s_cselect_b32 s19, s27, s17
	s_cselect_b32 s18, s26, s15
	s_xor_b64 s[20:21], s[20:21], 0
	s_xor_b64 s[18:19], s[18:19], s[20:21]
	s_sub_u32 s18, s18, s20
	s_andn2_b32 vcc_lo, exec_lo, s16
	s_cbranch_vccnz .LBB19_6
.LBB19_5:
	v_cvt_f32_u32_e32 v1, s9
	s_sub_i32 s16, 0, s9
	v_rcp_iflag_f32_e32 v1, v1
	v_mul_f32_e32 v1, 0x4f7ffffe, v1
	v_cvt_u32_f32_e32 v1, v1
	s_waitcnt lgkmcnt(0)
	v_readfirstlane_b32 s15, v1
	s_mul_i32 s16, s16, s15
	s_mul_hi_u32 s16, s15, s16
	s_add_i32 s15, s15, s16
	s_mul_hi_u32 s15, s11, s15
	s_mul_i32 s16, s15, s9
	s_sub_i32 s11, s11, s16
	s_add_i32 s16, s15, 1
	s_sub_i32 s17, s11, s9
	s_cmp_ge_u32 s11, s9
	s_cselect_b32 s15, s16, s15
	s_cselect_b32 s11, s17, s11
	s_add_i32 s16, s15, 1
	s_cmp_ge_u32 s11, s9
	s_cselect_b32 s18, s16, s15
.LBB19_6:
	s_cmp_eq_u32 s10, s18
	s_waitcnt lgkmcnt(0)
	s_mul_hi_u32 s11, s10, s12
	s_cselect_b32 s15, -1, 0
	s_add_i32 s11, s11, s10
	s_lshr_b32 s11, s11, s13
	s_mul_i32 s16, s11, s14
	s_cmp_eq_u32 s16, s10
	s_mul_hi_u32 s16, s18, s12
	s_cselect_b32 s17, -1, 0
	s_add_i32 s16, s16, s18
	s_lshr_b32 s16, s16, s13
	s_cmp_eq_u32 s11, s16
	s_mul_i32 s16, s16, s14
	s_cselect_b32 s19, -1, 0
	s_cmp_lg_u32 s16, s18
	s_cselect_b32 s16, -1, 0
	s_or_b32 s15, s15, s17
	s_and_b32 s16, s19, s16
	s_or_b32 s15, s15, s16
	s_and_b32 vcc_lo, exec_lo, s15
	s_cbranch_vccnz .LBB19_24
; %bb.7:
	s_clause 0x1
	s_load_dwordx8 s[20:27], s[4:5], 0x20
	s_load_dword s16, s[4:5], 0x40
	s_waitcnt lgkmcnt(0)
	s_mul_hi_u32 s15, s10, s20
	s_add_i32 s15, s15, s10
	s_lshr_b32 s15, s15, s21
	s_mul_i32 s17, s15, s22
	s_sub_i32 s17, s10, s17
	s_mul_hi_u32 s18, s17, s23
	s_add_i32 s18, s17, s18
	s_lshr_b32 s22, s18, s24
	s_mul_i32 s18, s22, s25
	s_sub_i32 s17, s17, s18
	s_mul_hi_u32 s18, s17, s26
	s_add_i32 s18, s17, s18
	s_lshr_b32 s18, s18, s27
	s_mul_i32 s16, s18, s16
	s_lshl_b32 s24, s18, 2
	s_sub_i32 s16, s17, s16
	s_mul_hi_u32 s17, s16, s12
	s_add_i32 s16, s16, s17
	s_lshr_b32 s23, s16, s13
	s_lshl_b32 s16, s23, 1
	s_add_i32 s16, s16, s7
	s_cmp_lt_i32 s16, s0
	s_cselect_b32 s16, -1, 0
	s_add_i32 s17, s24, s8
	s_cmp_lt_i32 s17, s2
	s_cselect_b32 s17, -1, 0
	s_and_b32 s16, s16, s17
	s_andn2_b32 vcc_lo, exec_lo, s16
	s_cbranch_vccnz .LBB19_24
; %bb.8:
	s_load_dwordx4 s[16:19], s[4:5], 0x0
	s_mov_b32 s4, 0
	s_lshl_b32 s20, s9, 5
	s_mov_b32 s21, s4
	s_lshl_b32 s5, s7, 2
	s_lshl_b64 s[20:21], s[20:21], 2
	s_mul_i32 s0, s15, s0
	s_add_i32 s15, s5, s8
	s_mul_i32 s22, s22, s2
	v_cvt_f32_u32_e32 v4, s9
	v_rcp_iflag_f32_e32 v4, v4
	s_waitcnt lgkmcnt(0)
	s_add_u32 s20, s18, s20
	s_addc_u32 s21, s19, s21
	s_add_i32 s0, s0, s7
	s_mul_i32 s0, s0, s1
	s_mul_i32 s1, s1, s23
	s_add_i32 s0, s0, s8
	s_lshl_b32 s1, s1, 10
	s_add_i32 s0, s0, s22
	v_mul_f32_e32 v4, 0x4f7ffffe, v4
	s_add_i32 s0, s0, s24
	s_lshl_b32 s0, s0, 9
	s_add_i32 s1, s1, s0
	s_lshl_b32 s0, s6, 3
	v_or_b32_e32 v1, s1, v0
	s_add_i32 s0, s15, s0
	v_lshl_or_b32 v0, s15, 9, v0
	s_ashr_i32 s1, s0, 31
	v_cvt_u32_f32_e32 v4, v4
	v_ashrrev_i32_e32 v2, 31, v1
	s_lshl_b64 s[0:1], s[0:1], 3
	s_add_u32 s0, s18, s0
	s_addc_u32 s1, s19, s1
	v_lshlrev_b64 v[1:2], 2, v[1:2]
	s_load_dwordx2 s[0:1], s[0:1], 0x0
	s_add_i32 s8, s6, -1
	s_sub_i32 s2, 0, s9
	v_add_co_u32 v1, vcc_lo, s16, v1
	v_add_co_ci_u32_e64 v2, null, s17, v2, vcc_lo
	global_load_dword v3, v[1:2], off
	s_waitcnt lgkmcnt(0)
	v_mov_b32_e32 v5, s1
	v_mov_b32_e32 v6, s0
.LBB19_9:                               ; =>This Inner Loop Header: Depth=1
	s_mul_hi_i32 s5, s8, s3
	s_mul_i32 s6, s8, s3
	s_cmp_lg_u64 s[4:5], 0
	s_mov_b32 s7, -1
                                        ; implicit-def: $sgpr0_sgpr1
	s_cbranch_scc0 .LBB19_11
; %bb.10:                               ;   in Loop: Header=BB19_9 Depth=1
	s_add_u32 s0, s9, 0
	s_addc_u32 s1, 0, 0
	s_xor_b64 s[0:1], s[0:1], 0
	v_cvt_f32_u32_e32 v7, s0
	v_cvt_f32_u32_e32 v8, s1
	s_sub_u32 s17, 0, s0
	s_subb_u32 s22, 0, s1
	v_fmac_f32_e32 v7, 0x4f800000, v8
	v_rcp_f32_e32 v7, v7
	v_mul_f32_e32 v7, 0x5f7ffffc, v7
	v_mul_f32_e32 v8, 0x2f800000, v7
	v_trunc_f32_e32 v8, v8
	v_fmac_f32_e32 v7, 0xcf800000, v8
	v_cvt_u32_f32_e32 v8, v8
	v_cvt_u32_f32_e32 v7, v7
	v_readfirstlane_b32 s7, v8
	v_readfirstlane_b32 s16, v7
	s_mul_i32 s23, s17, s7
	s_mul_hi_u32 s25, s17, s16
	s_mul_i32 s24, s22, s16
	s_add_i32 s23, s25, s23
	s_mul_i32 s26, s17, s16
	s_add_i32 s23, s23, s24
	s_mul_hi_u32 s25, s16, s26
	s_mul_i32 s28, s16, s23
	s_mul_hi_u32 s27, s7, s26
	s_mul_i32 s24, s7, s26
	s_mul_hi_u32 s26, s16, s23
	s_add_u32 s25, s25, s28
	s_addc_u32 s26, 0, s26
	s_mul_hi_u32 s29, s7, s23
	s_add_u32 s24, s25, s24
	s_mul_i32 s23, s7, s23
	s_addc_u32 s24, s26, s27
	s_addc_u32 s25, s29, 0
	s_add_u32 s23, s24, s23
	s_addc_u32 s24, 0, s25
	s_add_u32 s16, s16, s23
	s_cselect_b32 s23, -1, 0
	s_mul_hi_u32 s25, s17, s16
	s_cmp_lg_u32 s23, 0
	s_mul_i32 s23, s17, s16
	s_addc_u32 s7, s7, s24
	s_mul_i32 s22, s22, s16
	s_mul_i32 s17, s17, s7
	s_mul_hi_u32 s24, s16, s23
	s_add_i32 s17, s25, s17
	s_mul_hi_u32 s25, s7, s23
	s_add_i32 s17, s17, s22
	s_mul_i32 s22, s7, s23
	s_mul_i32 s27, s16, s17
	s_mul_hi_u32 s26, s16, s17
	s_add_u32 s24, s24, s27
	s_addc_u32 s26, 0, s26
	s_mul_hi_u32 s23, s7, s17
	s_add_u32 s22, s24, s22
	s_mul_i32 s17, s7, s17
	s_addc_u32 s22, s26, s25
	s_addc_u32 s23, s23, 0
	s_add_u32 s17, s22, s17
	s_addc_u32 s22, 0, s23
	s_add_u32 s24, s16, s17
	s_cselect_b32 s16, -1, 0
	s_cmp_lg_u32 s16, 0
	s_addc_u32 s7, s7, s22
	s_ashr_i32 s16, s5, 31
	s_add_u32 s22, s6, s16
	s_mov_b32 s17, s16
	s_addc_u32 s23, s5, s16
	s_xor_b64 s[22:23], s[22:23], s[16:17]
	s_mul_i32 s25, s22, s7
	s_mul_hi_u32 s26, s22, s24
	s_mul_hi_u32 s5, s22, s7
	;; [unrolled: 1-line block ×3, first 2 shown]
	s_mul_i32 s24, s23, s24
	s_add_u32 s25, s26, s25
	s_addc_u32 s5, 0, s5
	s_mul_hi_u32 s27, s23, s7
	s_add_u32 s24, s25, s24
	s_mul_i32 s7, s23, s7
	s_addc_u32 s5, s5, s28
	s_addc_u32 s24, s27, 0
	s_add_u32 s5, s5, s7
	s_addc_u32 s7, 0, s24
	s_mul_hi_u32 s24, s0, s5
	s_mul_i32 s25, s0, s7
	s_mul_i32 s26, s1, s5
	s_add_i32 s24, s24, s25
	s_mul_i32 s25, s0, s5
	s_add_i32 s24, s24, s26
	s_sub_i32 s26, s23, s24
	s_sub_u32 s22, s22, s25
	s_cselect_b32 s25, -1, 0
	s_cmp_lg_u32 s25, 0
	s_subb_u32 s26, s26, s1
	s_sub_u32 s27, s22, s0
	s_cselect_b32 s28, -1, 0
	s_cmp_lg_u32 s28, 0
	s_subb_u32 s26, s26, 0
	s_cmp_ge_u32 s26, s1
	s_cselect_b32 s28, -1, 0
	s_cmp_ge_u32 s27, s0
	s_cselect_b32 s27, -1, 0
	s_cmp_eq_u32 s26, s1
	s_cselect_b32 s26, s27, s28
	s_add_u32 s27, s5, 1
	s_addc_u32 s28, s7, 0
	s_add_u32 s29, s5, 2
	s_addc_u32 s30, s7, 0
	s_cmp_lg_u32 s26, 0
	s_cselect_b32 s26, s29, s27
	s_cselect_b32 s27, s30, s28
	s_cmp_lg_u32 s25, 0
	s_subb_u32 s23, s23, s24
	s_cmp_ge_u32 s23, s1
	s_cselect_b32 s24, -1, 0
	s_cmp_ge_u32 s22, s0
	s_cselect_b32 s0, -1, 0
	s_cmp_eq_u32 s23, s1
	s_cselect_b32 s0, s0, s24
	s_cmp_lg_u32 s0, 0
	s_cselect_b32 s1, s27, s7
	s_cselect_b32 s0, s26, s5
	s_xor_b64 s[16:17], s[16:17], 0
	s_mov_b32 s7, 0
	s_xor_b64 s[0:1], s[0:1], s[16:17]
	s_sub_u32 s0, s0, s16
.LBB19_11:                              ;   in Loop: Header=BB19_9 Depth=1
	s_andn2_b32 vcc_lo, exec_lo, s7
	s_cbranch_vccnz .LBB19_13
; %bb.12:                               ;   in Loop: Header=BB19_9 Depth=1
	v_readfirstlane_b32 s0, v4
	s_mul_i32 s1, s2, s0
	s_mul_hi_u32 s1, s0, s1
	s_add_i32 s0, s0, s1
	s_mul_hi_u32 s0, s6, s0
	s_mul_i32 s1, s0, s9
	s_add_i32 s5, s0, 1
	s_sub_i32 s1, s6, s1
	s_sub_i32 s6, s1, s9
	s_cmp_ge_u32 s1, s9
	s_cselect_b32 s0, s5, s0
	s_cselect_b32 s1, s6, s1
	s_add_i32 s5, s0, 1
	s_cmp_ge_u32 s1, s9
	s_cselect_b32 s0, s5, s0
.LBB19_13:                              ;   in Loop: Header=BB19_9 Depth=1
	s_cmp_lg_u32 s10, s0
	s_mov_b32 s6, -1
                                        ; implicit-def: $sgpr5
                                        ; implicit-def: $vgpr8
                                        ; implicit-def: $vgpr7
                                        ; implicit-def: $vgpr9
                                        ; implicit-def: $sgpr1
                                        ; implicit-def: $sgpr16
	s_cbranch_scc0 .LBB19_18
; %bb.14:                               ;   in Loop: Header=BB19_9 Depth=1
	s_add_i32 s1, s8, s9
	s_mov_b32 s7, s4
	s_lshl_b32 s1, s1, 3
	s_mov_b32 s16, s10
	s_add_i32 s6, s1, s15
	s_mul_hi_u32 s1, s0, s12
	s_lshl_b64 s[6:7], s[6:7], 3
	s_add_u32 s6, s18, s6
	s_addc_u32 s7, s19, s7
	s_add_i32 s1, s1, s0
	s_lshr_b32 s1, s1, s13
	s_mul_i32 s5, s1, s14
	s_cmp_eq_u32 s5, s0
	s_cselect_b32 s5, -1, 0
	s_cmp_lt_u32 s1, s11
	s_cselect_b32 s1, -1, 0
	s_or_b32 s1, s1, s5
	s_mov_b32 s5, -1
	s_and_b32 vcc_lo, exec_lo, s1
	s_mov_b32 s1, s8
	s_cbranch_vccnz .LBB19_16
; %bb.15:                               ;   in Loop: Header=BB19_9 Depth=1
	s_add_i32 s1, s8, -1
	s_mov_b32 s5, 0
	s_mov_b32 s16, s0
.LBB19_16:                              ;   in Loop: Header=BB19_9 Depth=1
	v_lshl_add_u32 v7, s8, 12, v0
	s_load_dwordx2 s[6:7], s[6:7], 0x0
	v_ashrrev_i32_e32 v8, 31, v7
	v_lshlrev_b64 v[7:8], 2, v[7:8]
	v_add_co_u32 v7, vcc_lo, s20, v7
	v_add_co_ci_u32_e64 v8, null, s21, v8, vcc_lo
	s_waitcnt lgkmcnt(0)
	v_max_f32_e64 v9, s6, s6
	global_load_dword v8, v[7:8], off
	v_max_f32_e32 v7, v6, v6
	v_max_f32_e32 v7, v7, v9
	v_sub_f32_e32 v9, s6, v7
	v_sub_f32_e32 v10, v6, v7
	v_mul_f32_e32 v11, 0x3fb8aa3b, v9
	v_mul_f32_e32 v12, 0x3fb8aa3b, v10
	v_cmp_ngt_f32_e32 vcc_lo, 0xc2ce8ed0, v9
	v_fma_f32 v13, 0x3fb8aa3b, v9, -v11
	v_rndne_f32_e32 v14, v11
	v_fma_f32 v15, 0x3fb8aa3b, v10, -v12
	v_rndne_f32_e32 v16, v12
	v_fmac_f32_e32 v13, 0x32a5705f, v9
	v_sub_f32_e32 v11, v11, v14
	v_fmac_f32_e32 v15, 0x32a5705f, v10
	v_sub_f32_e32 v12, v12, v16
	v_add_f32_e32 v11, v11, v13
	v_cvt_i32_f32_e32 v13, v14
	v_add_f32_e32 v12, v12, v15
	v_cvt_i32_f32_e32 v14, v16
	v_exp_f32_e32 v11, v11
	v_exp_f32_e32 v12, v12
	v_ldexp_f32 v11, v11, v13
	v_ldexp_f32 v12, v12, v14
	v_cndmask_b32_e32 v11, 0, v11, vcc_lo
	v_cmp_ngt_f32_e32 vcc_lo, 0xc2ce8ed0, v10
	v_cndmask_b32_e32 v12, 0, v12, vcc_lo
	v_cmp_nlt_f32_e32 vcc_lo, 0x42b17218, v9
	v_cndmask_b32_e32 v11, 0x7f800000, v11, vcc_lo
	v_cmp_nlt_f32_e32 vcc_lo, 0x42b17218, v10
	v_cndmask_b32_e32 v12, 0x7f800000, v12, vcc_lo
	v_cmp_le_f32_e32 vcc_lo, 0xc1a00000, v9
	v_cndmask_b32_e32 v9, 0, v11, vcc_lo
	v_cmp_le_f32_e32 vcc_lo, 0xc1a00000, v10
	v_cndmask_b32_e32 v10, 0, v12, vcc_lo
	s_waitcnt vmcnt(0)
	v_mul_f32_e32 v8, v8, v9
	v_mul_f32_e32 v9, s7, v9
	v_fmac_f32_e32 v8, v3, v10
	v_fmac_f32_e32 v9, v5, v10
	s_cbranch_execz .LBB19_19
.LBB19_17:                              ;   in Loop: Header=BB19_9 Depth=1
	s_andn2_b32 vcc_lo, exec_lo, s5
	s_cbranch_vccnz .LBB19_20
	s_branch .LBB19_23
.LBB19_18:                              ;   in Loop: Header=BB19_9 Depth=1
	s_andn2_b32 vcc_lo, exec_lo, s6
	s_cbranch_vccnz .LBB19_17
.LBB19_19:                              ;   in Loop: Header=BB19_9 Depth=1
	v_mov_b32_e32 v9, v5
	v_mov_b32_e32 v7, v6
	s_waitcnt vmcnt(0)
	v_mov_b32_e32 v8, v3
	s_add_i32 s1, s8, -1
	s_mov_b32 s16, s10
	s_cbranch_execz .LBB19_23
.LBB19_20:                              ;   in Loop: Header=BB19_9 Depth=1
	v_mov_b32_e32 v5, v9
	v_mov_b32_e32 v6, v7
	s_waitcnt vmcnt(0)
	v_mov_b32_e32 v3, v8
	s_mov_b32 s10, s16
	s_mov_b32 s8, s1
	s_branch .LBB19_9
.LBB19_21:
                                        ; implicit-def: $sgpr10_sgpr11
	s_load_dwordx4 s[12:15], s[4:5], 0x44
	s_branch .LBB19_2
.LBB19_22:
                                        ; implicit-def: $sgpr18_sgpr19
	s_branch .LBB19_5
.LBB19_23:
	v_div_scale_f32 v0, null, v9, v9, v8
	s_waitcnt vmcnt(0)
	v_rcp_f32_e32 v3, v0
	v_fma_f32 v4, -v0, v3, 1.0
	v_fmac_f32_e32 v3, v4, v3
	v_div_scale_f32 v4, vcc_lo, v8, v9, v8
	v_mul_f32_e32 v5, v4, v3
	v_fma_f32 v6, -v0, v5, v4
	v_fmac_f32_e32 v5, v6, v3
	v_fma_f32 v0, -v0, v5, v4
	v_div_fmas_f32 v0, v0, v3, v5
	v_div_fixup_f32 v0, v0, v9, v8
	global_store_dword v[1:2], v0, off
.LBB19_24:
	s_endpgm
	.section	.rodata,"a",@progbits
	.p2align	6, 0x0
	.amdhsa_kernel _ZL33flash_attn_stream_k_fixup_generalILi512ELi2ELi4EEvPfPK15HIP_vector_typeIfLj2EEiiiiS1_IjLj3EES5_S5_S5_
		.amdhsa_group_segment_fixed_size 0
		.amdhsa_private_segment_fixed_size 0
		.amdhsa_kernarg_size 336
		.amdhsa_user_sgpr_count 6
		.amdhsa_user_sgpr_private_segment_buffer 1
		.amdhsa_user_sgpr_dispatch_ptr 0
		.amdhsa_user_sgpr_queue_ptr 0
		.amdhsa_user_sgpr_kernarg_segment_ptr 1
		.amdhsa_user_sgpr_dispatch_id 0
		.amdhsa_user_sgpr_flat_scratch_init 0
		.amdhsa_user_sgpr_private_segment_size 0
		.amdhsa_wavefront_size32 1
		.amdhsa_uses_dynamic_stack 0
		.amdhsa_system_sgpr_private_segment_wavefront_offset 0
		.amdhsa_system_sgpr_workgroup_id_x 1
		.amdhsa_system_sgpr_workgroup_id_y 1
		.amdhsa_system_sgpr_workgroup_id_z 1
		.amdhsa_system_sgpr_workgroup_info 0
		.amdhsa_system_vgpr_workitem_id 0
		.amdhsa_next_free_vgpr 17
		.amdhsa_next_free_sgpr 31
		.amdhsa_reserve_vcc 1
		.amdhsa_reserve_flat_scratch 0
		.amdhsa_float_round_mode_32 0
		.amdhsa_float_round_mode_16_64 0
		.amdhsa_float_denorm_mode_32 3
		.amdhsa_float_denorm_mode_16_64 3
		.amdhsa_dx10_clamp 1
		.amdhsa_ieee_mode 1
		.amdhsa_fp16_overflow 0
		.amdhsa_workgroup_processor_mode 1
		.amdhsa_memory_ordered 1
		.amdhsa_forward_progress 1
		.amdhsa_shared_vgpr_count 0
		.amdhsa_exception_fp_ieee_invalid_op 0
		.amdhsa_exception_fp_denorm_src 0
		.amdhsa_exception_fp_ieee_div_zero 0
		.amdhsa_exception_fp_ieee_overflow 0
		.amdhsa_exception_fp_ieee_underflow 0
		.amdhsa_exception_fp_ieee_inexact 0
		.amdhsa_exception_int_div_zero 0
	.end_amdhsa_kernel
	.section	.text._ZL33flash_attn_stream_k_fixup_generalILi512ELi2ELi4EEvPfPK15HIP_vector_typeIfLj2EEiiiiS1_IjLj3EES5_S5_S5_,"axG",@progbits,_ZL33flash_attn_stream_k_fixup_generalILi512ELi2ELi4EEvPfPK15HIP_vector_typeIfLj2EEiiiiS1_IjLj3EES5_S5_S5_,comdat
.Lfunc_end19:
	.size	_ZL33flash_attn_stream_k_fixup_generalILi512ELi2ELi4EEvPfPK15HIP_vector_typeIfLj2EEiiiiS1_IjLj3EES5_S5_S5_, .Lfunc_end19-_ZL33flash_attn_stream_k_fixup_generalILi512ELi2ELi4EEvPfPK15HIP_vector_typeIfLj2EEiiiiS1_IjLj3EES5_S5_S5_
                                        ; -- End function
	.set _ZL33flash_attn_stream_k_fixup_generalILi512ELi2ELi4EEvPfPK15HIP_vector_typeIfLj2EEiiiiS1_IjLj3EES5_S5_S5_.num_vgpr, 17
	.set _ZL33flash_attn_stream_k_fixup_generalILi512ELi2ELi4EEvPfPK15HIP_vector_typeIfLj2EEiiiiS1_IjLj3EES5_S5_S5_.num_agpr, 0
	.set _ZL33flash_attn_stream_k_fixup_generalILi512ELi2ELi4EEvPfPK15HIP_vector_typeIfLj2EEiiiiS1_IjLj3EES5_S5_S5_.numbered_sgpr, 31
	.set _ZL33flash_attn_stream_k_fixup_generalILi512ELi2ELi4EEvPfPK15HIP_vector_typeIfLj2EEiiiiS1_IjLj3EES5_S5_S5_.num_named_barrier, 0
	.set _ZL33flash_attn_stream_k_fixup_generalILi512ELi2ELi4EEvPfPK15HIP_vector_typeIfLj2EEiiiiS1_IjLj3EES5_S5_S5_.private_seg_size, 0
	.set _ZL33flash_attn_stream_k_fixup_generalILi512ELi2ELi4EEvPfPK15HIP_vector_typeIfLj2EEiiiiS1_IjLj3EES5_S5_S5_.uses_vcc, 1
	.set _ZL33flash_attn_stream_k_fixup_generalILi512ELi2ELi4EEvPfPK15HIP_vector_typeIfLj2EEiiiiS1_IjLj3EES5_S5_S5_.uses_flat_scratch, 0
	.set _ZL33flash_attn_stream_k_fixup_generalILi512ELi2ELi4EEvPfPK15HIP_vector_typeIfLj2EEiiiiS1_IjLj3EES5_S5_S5_.has_dyn_sized_stack, 0
	.set _ZL33flash_attn_stream_k_fixup_generalILi512ELi2ELi4EEvPfPK15HIP_vector_typeIfLj2EEiiiiS1_IjLj3EES5_S5_S5_.has_recursion, 0
	.set _ZL33flash_attn_stream_k_fixup_generalILi512ELi2ELi4EEvPfPK15HIP_vector_typeIfLj2EEiiiiS1_IjLj3EES5_S5_S5_.has_indirect_call, 0
	.section	.AMDGPU.csdata,"",@progbits
; Kernel info:
; codeLenInByte = 2944
; TotalNumSgprs: 33
; NumVgprs: 17
; ScratchSize: 0
; MemoryBound: 0
; FloatMode: 240
; IeeeMode: 1
; LDSByteSize: 0 bytes/workgroup (compile time only)
; SGPRBlocks: 0
; VGPRBlocks: 2
; NumSGPRsForWavesPerEU: 33
; NumVGPRsForWavesPerEU: 17
; Occupancy: 16
; WaveLimiterHint : 0
; COMPUTE_PGM_RSRC2:SCRATCH_EN: 0
; COMPUTE_PGM_RSRC2:USER_SGPR: 6
; COMPUTE_PGM_RSRC2:TRAP_HANDLER: 0
; COMPUTE_PGM_RSRC2:TGID_X_EN: 1
; COMPUTE_PGM_RSRC2:TGID_Y_EN: 1
; COMPUTE_PGM_RSRC2:TGID_Z_EN: 1
; COMPUTE_PGM_RSRC2:TIDIG_COMP_CNT: 0
	.section	.text._ZL15flash_attn_tileILi576ELi512ELi1ELi4ELb0EEvPKcS1_S1_S1_S1_PKiPfP15HIP_vector_typeIfLj2EEffffjfiS5_IjLj3EEiiiiiiiiiiiliiliiiiil,"axG",@progbits,_ZL15flash_attn_tileILi576ELi512ELi1ELi4ELb0EEvPKcS1_S1_S1_S1_PKiPfP15HIP_vector_typeIfLj2EEffffjfiS5_IjLj3EEiiiiiiiiiiiliiliiiiil,comdat
	.globl	_ZL15flash_attn_tileILi576ELi512ELi1ELi4ELb0EEvPKcS1_S1_S1_S1_PKiPfP15HIP_vector_typeIfLj2EEffffjfiS5_IjLj3EEiiiiiiiiiiiliiliiiiil ; -- Begin function _ZL15flash_attn_tileILi576ELi512ELi1ELi4ELb0EEvPKcS1_S1_S1_S1_PKiPfP15HIP_vector_typeIfLj2EEffffjfiS5_IjLj3EEiiiiiiiiiiiliiliiiiil
	.p2align	8
	.type	_ZL15flash_attn_tileILi576ELi512ELi1ELi4ELb0EEvPKcS1_S1_S1_S1_PKiPfP15HIP_vector_typeIfLj2EEffffjfiS5_IjLj3EEiiiiiiiiiiiliiliiiiil,@function
_ZL15flash_attn_tileILi576ELi512ELi1ELi4ELb0EEvPKcS1_S1_S1_S1_PKiPfP15HIP_vector_typeIfLj2EEffffjfiS5_IjLj3EEiiiiiiiiiiiliiliiiiil: ; @_ZL15flash_attn_tileILi576ELi512ELi1ELi4ELb0EEvPKcS1_S1_S1_S1_PKiPfP15HIP_vector_typeIfLj2EEffffjfiS5_IjLj3EEiiiiiiiiiiiliiliiiiil
; %bb.0:
	s_clause 0x1
	s_load_dwordx4 s[24:27], s[4:5], 0x5c
	s_load_dwordx2 s[30:31], s[4:5], 0x80
	s_mov_b32 s28, s7
	s_mov_b64 s[34:35], 0
	s_waitcnt lgkmcnt(0)
	s_ashr_i32 s0, s27, 31
	s_lshr_b32 s0, s0, 30
	s_add_i32 s0, s27, s0
	s_ashr_i32 s0, s0, 2
	v_cvt_f32_u32_e32 v2, s0
	s_sub_i32 s2, 0, s0
	v_rcp_iflag_f32_e32 v2, v2
	v_mul_f32_e32 v2, 0x4f7ffffe, v2
	v_cvt_u32_f32_e32 v2, v2
	v_readfirstlane_b32 s1, v2
	s_mul_i32 s2, s2, s1
	s_mul_hi_u32 s2, s1, s2
	s_add_i32 s1, s1, s2
	s_mul_hi_u32 s1, s8, s1
	s_mul_i32 s2, s1, s0
	s_add_i32 s3, s1, 1
	s_sub_i32 s2, s8, s2
	s_sub_i32 s7, s2, s0
	s_cmp_ge_u32 s2, s0
	s_cselect_b32 s1, s3, s1
	s_cselect_b32 s2, s7, s2
	s_add_i32 s3, s1, 1
	s_cmp_ge_u32 s2, s0
	s_cselect_b32 s29, s3, s1
	s_abs_i32 s0, s31
	s_lshl_b32 s3, s8, 2
	v_cvt_f32_u32_e32 v2, s0
	s_sub_i32 s2, 0, s0
	s_abs_i32 s8, s27
	s_mul_i32 s7, s29, s27
	v_rcp_iflag_f32_e32 v2, v2
	s_sub_i32 s33, s3, s7
	v_mul_f32_e32 v2, 0x4f7ffffe, v2
	v_cvt_u32_f32_e32 v2, v2
	v_readfirstlane_b32 s1, v2
	s_mul_i32 s2, s2, s1
	s_mul_hi_u32 s2, s1, s2
	s_add_i32 s1, s1, s2
	s_xor_b32 s2, s27, s31
	s_mul_hi_u32 s1, s8, s1
	s_ashr_i32 s2, s2, 31
	s_mul_i32 s3, s1, s0
	s_add_i32 s7, s1, 1
	s_sub_i32 s3, s8, s3
	s_sub_i32 s8, s3, s0
	s_cmp_ge_u32 s3, s0
	s_cselect_b32 s1, s7, s1
	s_cselect_b32 s3, s8, s3
	s_add_i32 s7, s1, 1
	s_cmp_ge_u32 s3, s0
	s_clause 0x1
	s_load_dwordx16 s[8:23], s[4:5], 0x0
	s_load_dwordx2 s[36:37], s[4:5], 0xb8
	s_cselect_b32 s0, s7, s1
	s_xor_b32 s0, s0, s2
	s_sub_i32 s31, s0, s2
	s_abs_i32 s7, s31
	v_cvt_f32_u32_e32 v2, s7
	v_rcp_iflag_f32_e32 v2, v2
	s_waitcnt lgkmcnt(0)
	s_cmp_eq_u64 s[14:15], 0
	v_mul_f32_e32 v2, 0x4f7ffffe, v2
	v_cvt_u32_f32_e32 v2, v2
	v_readfirstlane_b32 s38, v2
	s_cbranch_scc1 .LBB20_2
; %bb.1:
	s_abs_i32 s2, s36
	s_abs_i32 s3, s29
	v_cvt_f32_u32_e32 v2, s2
	s_sub_i32 s1, 0, s2
	v_rcp_iflag_f32_e32 v2, v2
	v_mul_f32_e32 v2, 0x4f7ffffe, v2
	v_cvt_u32_f32_e32 v2, v2
	v_readfirstlane_b32 s0, v2
	s_mul_i32 s1, s1, s0
	s_mul_hi_u32 s1, s0, s1
	s_add_i32 s0, s0, s1
	s_mul_hi_u32 s34, s3, s0
	s_load_dwordx2 s[0:1], s[4:5], 0xc8
	s_mul_i32 s34, s34, s2
	s_sub_i32 s3, s3, s34
	s_ashr_i32 s34, s29, 31
	s_sub_i32 s35, s3, s2
	s_cmp_ge_u32 s3, s2
	s_cselect_b32 s3, s35, s3
	s_sub_i32 s35, s3, s2
	s_cmp_ge_u32 s3, s2
	s_cselect_b32 s2, s35, s3
	s_xor_b32 s2, s2, s34
	s_sub_i32 s2, s2, s34
	s_ashr_i32 s3, s2, 31
	s_waitcnt lgkmcnt(0)
	s_mul_hi_u32 s34, s0, s2
	s_mul_i32 s3, s0, s3
	s_mul_i32 s1, s1, s2
	s_add_i32 s3, s34, s3
	s_mul_i32 s0, s0, s2
	s_add_i32 s3, s3, s1
	s_add_u32 s34, s14, s0
	s_addc_u32 s35, s15, s3
.LBB20_2:
	v_lshrrev_b32_e32 v2, 2, v1
	s_load_dwordx4 s[0:3], s[4:5], 0x70
	v_and_b32_e32 v65, 3, v1
	v_lshlrev_b32_e32 v67, 3, v0
	v_add_nc_u32_e32 v17, s6, v2
	v_mul_hi_u32 v2, s24, v17
	v_add_nc_u32_e32 v2, v17, v2
	s_waitcnt lgkmcnt(0)
	s_mul_i32 s3, s29, s2
	s_mul_i32 s14, s33, s1
	v_lshrrev_b32_e32 v2, s25, v2
	s_ashr_i32 s15, s3, 31
	s_add_u32 s3, s8, s3
	s_addc_u32 s8, s9, s15
	s_ashr_i32 s9, s14, 31
	v_mul_lo_u32 v2, v2, s26
	s_add_u32 s14, s3, s14
	s_mov_b32 s2, s1
	s_addc_u32 s15, s8, s9
	s_ashr_i32 s3, s1, 31
	s_ashr_i32 s1, s0, 31
	s_lshr_b64 s[8:9], s[2:3], 2
	v_sub_nc_u32_e32 v4, v17, v2
	v_mad_u64_u32 v[2:3], null, s8, v65, 0
	s_lshr_b64 s[8:9], s[0:1], 2
	s_lshr_b32 s0, s3, 2
	v_mad_u64_u32 v[5:6], null, s8, v4, 0
	v_mad_u64_u32 v[7:8], null, s0, v65, v[3:4]
	s_lshr_b32 s0, s1, 2
	s_movk_i32 s1, 0x480
	v_mad_u32_u24 v68, v1, s1, 0x2400
	s_mov_b32 s1, exec_lo
	v_mad_u64_u32 v[8:9], null, s0, v4, v[6:7]
	v_mov_b32_e32 v3, v7
	v_lshlrev_b32_e32 v7, 4, v0
	s_load_dword s0, s[4:5], 0x40
	v_lshlrev_b64 v[2:3], 2, v[2:3]
	v_mov_b32_e32 v6, v8
	v_add_co_u32 v2, vcc_lo, s14, v2
	v_lshlrev_b64 v[5:6], 2, v[5:6]
	v_add_co_ci_u32_e64 v3, null, s15, v3, vcc_lo
	v_add_co_u32 v2, vcc_lo, v2, v5
	v_add_co_ci_u32_e64 v3, null, v3, v6, vcc_lo
	v_add_nc_u32_e32 v5, v68, v67
	v_add_co_u32 v2, vcc_lo, v2, v7
	v_add_co_ci_u32_e64 v3, null, 0, v3, vcc_lo
	s_clause 0x3
	global_load_dwordx4 v[6:9], v[2:3], off
	global_load_dwordx4 v[10:13], v[2:3], off offset:512
	global_load_dwordx4 v[18:21], v[2:3], off offset:1024
	;; [unrolled: 1-line block ×3, first 2 shown]
	s_waitcnt vmcnt(3) lgkmcnt(0)
	v_fma_mixlo_f16 v6, s0, v6, 0
	v_fma_mixlo_f16 v7, s0, v7, 0
	v_fma_mixlo_f16 v8, s0, v8, 0
	v_fma_mixlo_f16 v9, s0, v9, 0
	s_waitcnt vmcnt(2)
	v_fma_mixlo_f16 v10, s0, v10, 0
	v_fma_mixlo_f16 v11, s0, v11, 0
	;; [unrolled: 1-line block ×4, first 2 shown]
	s_waitcnt vmcnt(1)
	v_fma_mixlo_f16 v14, s0, v18, 0
	v_fma_mixlo_f16 v15, s0, v19, 0
	;; [unrolled: 1-line block ×3, first 2 shown]
	s_waitcnt vmcnt(0)
	v_fma_mixlo_f16 v19, s0, v22, 0
	v_fma_mixlo_f16 v20, s0, v23, 0
	v_lshlrev_b32_e32 v7, 16, v7
	v_and_b32_e32 v6, 0xffff, v6
	v_lshlrev_b32_e32 v9, 16, v9
	v_and_b32_e32 v8, 0xffff, v8
	;; [unrolled: 2-line block ×3, first 2 shown]
	v_fma_mixlo_f16 v18, s0, v21, 0
	v_fma_mixlo_f16 v21, s0, v24, 0
	;; [unrolled: 1-line block ×3, first 2 shown]
	v_lshlrev_b32_e32 v13, 16, v13
	v_and_b32_e32 v12, 0xffff, v12
	v_lshlrev_b32_e32 v15, 16, v15
	v_and_b32_e32 v14, 0xffff, v14
	;; [unrolled: 2-line block ×3, first 2 shown]
	v_or_b32_e32 v6, v7, v6
	v_or3_b32 v7, v9, v8, 0
	v_or_b32_e32 v8, v11, v10
	v_lshlrev_b32_e32 v18, 16, v18
	v_and_b32_e32 v16, 0xffff, v16
	v_lshlrev_b32_e32 v22, 16, v22
	v_and_b32_e32 v21, 0xffff, v21
	v_or3_b32 v9, v13, v12, 0
	v_or_b32_e32 v10, v15, v14
	v_or_b32_e32 v12, v20, v19
	v_or3_b32 v6, 0, 0, v6
	v_or3_b32 v8, 0, 0, v8
	;; [unrolled: 1-line block ×6, first 2 shown]
	ds_write2_b64 v5, v[6:7], v[8:9] offset1:32
	ds_write2_b64 v5, v[10:11], v[12:13] offset0:64 offset1:96
	v_cmpx_gt_u32_e32 16, v0
	s_cbranch_execz .LBB20_4
; %bb.3:
	v_add_co_u32 v2, vcc_lo, 0x800, v2
	v_add_co_ci_u32_e64 v3, null, 0, v3, vcc_lo
	global_load_dwordx4 v[6:9], v[2:3], off
	s_waitcnt vmcnt(0)
	v_fma_mixlo_f16 v2, s0, v7, 0
	v_fma_mixlo_f16 v3, s0, v6, 0
	;; [unrolled: 1-line block ×4, first 2 shown]
	v_lshlrev_b32_e32 v2, 16, v2
	v_and_b32_e32 v3, 0xffff, v3
	v_and_b32_e32 v6, 0xffff, v6
	v_lshlrev_b32_e32 v7, 16, v7
	v_or_b32_e32 v2, v2, v3
	v_or3_b32 v3, v7, v6, 0
	v_or3_b32 v2, 0, 0, v2
	ds_write_b64 v5, v[2:3] offset:1024
.LBB20_4:
	s_or_b32 exec_lo, exec_lo, s1
	s_cmp_eq_u64 s[18:19], 0
	s_waitcnt lgkmcnt(0)
	s_barrier
	buffer_gl0_inv
	s_cbranch_scc1 .LBB20_6
; %bb.5:
	s_load_dword s0, s[4:5], 0xd0
	s_mov_b32 s1, 0
	s_waitcnt lgkmcnt(0)
	s_mul_i32 s0, s0, s29
	s_add_i32 s0, s0, s6
	s_lshl_b64 s[0:1], s[0:1], 2
	s_add_u32 s0, s18, s0
	s_addc_u32 s1, s19, s1
	s_load_dword s30, s[0:1], 0x0
.LBB20_6:
	v_lshlrev_b32_e32 v66, 2, v0
	v_mbcnt_lo_u32_b32 v69, -1, 0
	s_lshl_b32 s8, s28, 6
	s_waitcnt lgkmcnt(0)
	s_cmp_lt_i32 s8, s30
	s_cbranch_scc1 .LBB20_9
; %bb.7:
	v_mbcnt_lo_u32_b32 v3, -1, 0
	v_mov_b32_e32 v2, 32
	v_xor_b32_e32 v74, 16, v3
	v_xor_b32_e32 v73, 8, v3
	;; [unrolled: 1-line block ×5, first 2 shown]
	s_cbranch_execz .LBB20_10
; %bb.8:
	v_mov_b32_e32 v97, 0
	v_mov_b32_e32 v75, 0
	;; [unrolled: 1-line block ×10, first 2 shown]
	s_branch .LBB20_13
.LBB20_9:
                                        ; implicit-def: $vgpr3
                                        ; implicit-def: $vgpr2
                                        ; implicit-def: $vgpr74
                                        ; implicit-def: $vgpr73
                                        ; implicit-def: $vgpr72
                                        ; implicit-def: $vgpr71
                                        ; implicit-def: $vgpr70
.LBB20_10:
	s_clause 0x1
	s_load_dwordx4 s[0:3], s[4:5], 0x98
	s_load_dwordx2 s[14:15], s[4:5], 0x8c
	s_sub_i32 s6, 0, s7
	s_abs_i32 s24, s33
	s_mul_i32 s6, s6, s38
	s_ashr_i32 s25, s33, 31
	s_mul_hi_u32 s6, s38, s6
	s_ashr_i32 s31, s31, 31
	s_add_i32 s38, s38, s6
	s_ashr_i32 s6, s37, 1
	s_ashr_i32 s37, s29, 31
	s_mul_hi_u32 s36, s24, s38
	s_load_dwordx2 s[18:19], s[4:5], 0xa8
	s_mul_i32 s38, s36, s7
	v_lshrrev_b32_e32 v2, 3, v0
	v_and_b32_e32 v15, 28, v66
	v_lshlrev_b32_e32 v80, 2, v66
	v_lshl_add_u32 v82, v1, 7, 0x3600
	v_mad_u64_u32 v[18:19], null, v4, s6, v[0:1]
	s_waitcnt lgkmcnt(0)
	s_mul_hi_u32 s39, s0, s29
	s_mul_i32 s40, s0, s37
	s_mul_i32 s1, s1, s29
	s_add_i32 s39, s39, s40
	s_mul_i32 s0, s0, s29
	s_ashr_i32 s9, s2, 2
	s_ashr_i32 s14, s14, 2
	s_add_i32 s39, s39, s1
	s_add_u32 s0, s10, s0
	s_addc_u32 s1, s11, s39
	s_sub_i32 s11, s24, s38
	s_xor_b32 s10, s25, s31
	s_add_i32 s24, s36, 1
	s_sub_i32 s25, s11, s7
	s_cmp_ge_u32 s11, s7
	v_lshl_add_u32 v3, v1, 2, v2
	s_cselect_b32 s24, s24, s36
	s_cselect_b32 s11, s25, s11
	s_add_i32 s25, s24, 1
	s_cmp_ge_u32 s11, s7
	s_mul_i32 s19, s19, s29
	s_cselect_b32 s7, s25, s24
	s_mul_hi_u32 s24, s18, s29
	s_xor_b32 s7, s7, s10
	s_mul_i32 s25, s18, s37
	s_sub_i32 s7, s7, s10
	v_mul_lo_u32 v2, s14, v3
	s_mul_i32 s10, s7, s15
	s_mul_i32 s15, s18, s29
	s_ashr_i32 s11, s10, 31
	s_add_u32 s10, s0, s10
	s_addc_u32 s11, s1, s11
	s_add_i32 s0, s24, s25
	s_mul_i32 s7, s7, s3
	s_add_i32 s0, s0, s19
	s_add_u32 s1, s12, s15
	s_addc_u32 s0, s13, s0
	s_ashr_i32 s12, s7, 31
	s_add_u32 s3, s1, s7
	s_addc_u32 s12, s0, s12
	s_lshl_b32 s0, s14, 4
	v_mul_lo_u32 v11, s9, v1
	v_add_nc_u32_e32 v5, s0, v2
	v_lshlrev_b32_e32 v6, 2, v15
	v_lshl_add_u32 v83, v1, 10, v80
	v_mov_b32_e32 v93, 0
	v_mul_u32_u24_e32 v81, 0x90, v0
	v_add_nc_u32_e32 v7, s0, v5
	v_mad_u32_u24 v76, 0x90, v3, v6
	v_ashrrev_i32_e32 v3, 31, v2
	v_ashrrev_i32_e32 v6, 31, v5
	;; [unrolled: 1-line block ×3, first 2 shown]
	v_add_nc_u32_e32 v9, s0, v7
	s_and_b32 s0, s2, -4
	v_ashrrev_i32_e32 v8, 31, v7
	v_add_nc_u32_e32 v13, s0, v11
	v_lshlrev_b64 v[19:20], 2, v[2:3]
	v_ashrrev_i32_e32 v10, 31, v9
	v_lshlrev_b64 v[21:22], 2, v[5:6]
	v_lshlrev_b64 v[23:24], 2, v[7:8]
	v_ashrrev_i32_e32 v14, 31, v13
	v_lshlrev_b64 v[27:28], 2, v[11:12]
	v_lshlrev_b64 v[25:26], 2, v[9:10]
	v_add_nc_u32_e32 v77, 0x900, v76
	v_add_nc_u32_e32 v78, 0x1200, v76
	v_lshlrev_b64 v[29:30], 2, v[13:14]
	v_add_nc_u32_e32 v79, 0x1b00, v76
	v_lshl_add_u32 v84, v0, 1, v82
	v_add_nc_u32_e32 v85, 0x200, v83
	v_add_nc_u32_e32 v86, 0x1000, v83
	;; [unrolled: 1-line block ×3, first 2 shown]
	v_mov_b32_e32 v1, 0xfeffffff
	v_lshlrev_b32_e32 v88, 2, v15
	v_xor_b32_e32 v74, 16, v69
	v_xor_b32_e32 v73, 8, v69
	;; [unrolled: 1-line block ×5, first 2 shown]
	v_mov_b32_e32 v89, 0x10001
	v_add_nc_u32_e32 v90, 0x800, v67
	v_add_nc_u32_e32 v91, 0x1000, v67
	;; [unrolled: 1-line block ×3, first 2 shown]
	v_mov_b32_e32 v94, 0
	v_mov_b32_e32 v96, 0
	;; [unrolled: 1-line block ×8, first 2 shown]
	s_add_u32 s6, s4, 0xd0
	s_addc_u32 s7, s5, 0
.LBB20_11:                              ; =>This Inner Loop Header: Depth=1
	v_cmp_gt_i32_e32 vcc_lo, 32, v74
	s_mul_hi_i32 s1, s8, s14
	s_mul_i32 s0, s8, s14
	v_mov_b32_e32 v101, v1
	v_add_nc_u32_e32 v1, s8, v18
	v_cndmask_b32_e32 v3, v69, v74, vcc_lo
	v_cmp_gt_i32_e32 vcc_lo, 32, v73
	s_lshl_b64 s[0:1], s[0:1], 2
	s_mul_hi_i32 s19, s8, s9
	s_mul_i32 s18, s8, s9
	s_add_u32 s2, s10, s0
	v_cndmask_b32_e32 v4, v69, v73, vcc_lo
	v_cmp_gt_i32_e32 vcc_lo, 32, v72
	s_addc_u32 s13, s11, s1
	v_ashrrev_i32_e32 v2, 31, v1
	s_lshl_b64 s[18:19], s[18:19], 2
	v_lshlrev_b32_e32 v107, 2, v4
	v_cndmask_b32_e32 v5, v69, v72, vcc_lo
	v_cmp_gt_i32_e32 vcc_lo, 32, v71
	v_add_co_u32 v4, s0, s2, v23
	v_lshlrev_b32_e32 v108, 2, v3
	v_lshlrev_b32_e32 v106, 2, v5
	v_cndmask_b32_e32 v6, v69, v71, vcc_lo
	v_cmp_gt_i32_e32 vcc_lo, 32, v70
	v_add_co_u32 v5, s1, s2, v25
	v_add_co_ci_u32_e64 v9, null, s13, v24, s0
	v_cndmask_b32_e32 v7, v69, v70, vcc_lo
	v_lshlrev_b32_e32 v105, 2, v6
	v_add_co_u32 v3, vcc_lo, s2, v21
	v_add_co_u32 v6, s2, s2, v19
	s_add_u32 s0, s3, s18
	v_lshlrev_b32_e32 v104, 2, v7
	v_add_co_ci_u32_e64 v7, null, s13, v20, s2
	v_add_co_ci_u32_e64 v8, null, s13, v22, vcc_lo
	v_add_co_ci_u32_e64 v10, null, s13, v26, s1
	s_addc_u32 s1, s12, s19
	s_or_b32 s2, s8, 8
	v_add_co_u32 v11, vcc_lo, s0, v27
	v_add_co_u32 v12, s0, s0, v29
	v_lshlrev_b64 v[1:2], 1, v[1:2]
	v_add_co_ci_u32_e64 v14, null, s1, v30, s0
	s_mul_hi_i32 s19, s2, s9
	s_mul_i32 s18, s2, s9
	v_add_co_u32 v49, s2, v6, v88
	v_add_co_ci_u32_e64 v13, null, s1, v28, vcc_lo
	v_add_co_u32 v43, vcc_lo, v3, v88
	v_add_co_u32 v45, s0, v4, v88
	v_add_co_u32 v47, s1, v5, v88
	v_add_co_ci_u32_e64 v50, null, 0, v7, s2
	v_add_co_ci_u32_e64 v44, null, 0, v8, vcc_lo
	v_add_co_ci_u32_e64 v46, null, 0, v9, s0
	v_add_co_ci_u32_e64 v48, null, 0, v10, s1
	s_lshl_b64 s[0:1], s[18:19], 2
	v_add_co_u32 v33, vcc_lo, v12, v80
	s_add_u32 s2, s3, s0
	v_add_co_u32 v35, s0, v11, v80
	v_add_co_ci_u32_e64 v34, null, 0, v14, vcc_lo
	v_add_co_u32 v55, vcc_lo, s34, v1
	v_add_co_ci_u32_e64 v36, null, 0, v13, s0
	v_add_co_ci_u32_e64 v56, null, s35, v2, vcc_lo
	s_clause 0x3
	global_load_dwordx4 v[13:16], v[49:50], off
	global_load_dwordx4 v[1:4], v[43:44], off
	global_load_dwordx4 v[5:8], v[45:46], off
	global_load_dwordx4 v[9:12], v[47:48], off
	v_mov_b32_e32 v102, 0
	v_mov_b32_e32 v103, 0
	s_addc_u32 s1, s12, s1
	s_or_b32 s13, s8, 16
	v_add_co_u32 v32, vcc_lo, s2, v27
	v_add_co_u32 v31, s0, s2, v29
	s_mul_hi_i32 s19, s13, s9
	s_mul_i32 s18, s13, s9
	v_add_co_ci_u32_e64 v38, null, s1, v28, vcc_lo
	v_add_co_ci_u32_e64 v39, null, s1, v30, s0
	s_lshl_b64 s[0:1], s[18:19], 2
	v_add_co_u32 v31, vcc_lo, v31, v80
	s_add_u32 s2, s3, s0
	v_add_co_u32 v37, s0, v32, v80
	v_add_co_ci_u32_e64 v38, null, 0, v38, s0
	s_addc_u32 s13, s12, s1
	s_or_b32 s15, s8, 24
	v_add_co_u32 v40, s0, s2, v27
	v_add_co_ci_u32_e64 v42, null, s13, v28, s0
	s_mul_hi_i32 s1, s15, s9
	s_mul_i32 s0, s15, s9
	v_add_co_ci_u32_e64 v32, null, 0, v39, vcc_lo
	v_add_co_u32 v39, vcc_lo, s2, v29
	s_lshl_b64 s[0:1], s[0:1], 2
	v_add_co_ci_u32_e64 v51, null, s13, v30, vcc_lo
	s_add_u32 s2, s3, s0
	v_add_co_u32 v41, s0, v40, v80
	v_add_co_ci_u32_e64 v42, null, 0, v42, s0
	s_addc_u32 s13, s12, s1
	s_or_b32 s15, s8, 32
	v_add_co_u32 v52, s0, s2, v27
	v_add_co_u32 v39, vcc_lo, v39, v80
	v_add_co_ci_u32_e64 v54, null, s13, v28, s0
	s_mul_hi_i32 s1, s15, s9
	s_mul_i32 s0, s15, s9
	v_add_co_ci_u32_e64 v40, null, 0, v51, vcc_lo
	v_add_co_u32 v51, vcc_lo, s2, v29
	s_lshl_b64 s[0:1], s[0:1], 2
	v_add_co_ci_u32_e64 v57, null, s13, v30, vcc_lo
	s_add_u32 s2, s3, s0
	v_add_co_u32 v53, s0, v52, v80
	v_add_co_u32 v51, vcc_lo, v51, v80
	v_add_co_ci_u32_e64 v54, null, 0, v54, s0
	s_addc_u32 s13, s12, s1
	s_or_b32 s15, s8, 40
	v_add_co_u32 v58, s0, s2, v27
	v_add_co_ci_u32_e64 v52, null, 0, v57, vcc_lo
	v_add_co_u32 v57, vcc_lo, s2, v29
	v_add_co_ci_u32_e64 v60, null, s13, v28, s0
	s_mul_hi_i32 s1, s15, s9
	s_mul_i32 s0, s15, s9
	v_add_co_ci_u32_e64 v61, null, s13, v30, vcc_lo
	s_lshl_b64 s[0:1], s[0:1], 2
	v_add_co_u32 v57, vcc_lo, v57, v80
	s_add_u32 s2, s3, s0
	v_add_co_u32 v59, s0, v58, v80
	v_add_co_ci_u32_e64 v60, null, 0, v60, s0
	s_addc_u32 s13, s12, s1
	s_or_b32 s15, s8, 48
	v_add_co_u32 v62, s0, s2, v27
	v_add_co_ci_u32_e64 v58, null, 0, v61, vcc_lo
	v_add_co_u32 v61, vcc_lo, s2, v29
	v_add_co_ci_u32_e64 v64, null, s13, v28, s0
	s_mul_hi_i32 s1, s15, s9
	s_mul_i32 s0, s15, s9
	v_add_co_ci_u32_e64 v109, null, s13, v30, vcc_lo
	s_lshl_b64 s[0:1], s[0:1], 2
	v_add_co_u32 v61, vcc_lo, v61, v80
	s_add_u32 s2, s3, s0
	v_add_co_u32 v63, s0, v62, v80
	s_addc_u32 s1, s12, s1
	s_or_b32 s13, s8, 56
	v_add_co_ci_u32_e64 v64, null, 0, v64, s0
	v_add_co_ci_u32_e64 v62, null, 0, v109, vcc_lo
	v_add_co_u32 v109, vcc_lo, s2, v27
	v_add_co_u32 v110, s0, s2, v29
	s_mul_hi_i32 s19, s13, s9
	s_mul_i32 s18, s13, s9
	v_add_co_ci_u32_e64 v111, null, s1, v30, s0
	s_waitcnt vmcnt(3)
	ds_write_b128 v76, v[13:16]
	s_waitcnt vmcnt(2)
	ds_write_b128 v77, v[1:4]
	;; [unrolled: 2-line block ×4, first 2 shown]
	s_waitcnt lgkmcnt(0)
	s_barrier
	buffer_gl0_inv
	ds_read_b128 v[1:4], v81
	ds_read_b128 v[5:8], v68
	ds_read_b128 v[9:12], v81 offset:4608
	s_waitcnt lgkmcnt(1)
	;;#ASMSTART
	v_dot2_f32_f16 v102, v1, v5, v102
	;;#ASMEND
	;;#ASMSTART
	v_dot2_f32_f16 v102, v2, v6, v102
	;;#ASMEND
	;;#ASMSTART
	v_dot2_f32_f16 v102, v3, v7, v102
	;;#ASMEND
	;;#ASMSTART
	v_dot2_f32_f16 v102, v4, v8, v102
	;;#ASMEND
	s_waitcnt lgkmcnt(0)
	;;#ASMSTART
	v_dot2_f32_f16 v103, v9, v5, v103
	;;#ASMEND
	;;#ASMSTART
	v_dot2_f32_f16 v103, v10, v6, v103
	;;#ASMEND
	;;#ASMSTART
	v_dot2_f32_f16 v103, v11, v7, v103
	;;#ASMEND
	;;#ASMSTART
	v_dot2_f32_f16 v103, v12, v8, v103
	;;#ASMEND
	ds_read_b128 v[1:4], v81 offset:16
	ds_read_b128 v[5:8], v68 offset:16
	ds_read_b128 v[9:12], v81 offset:4624
	s_waitcnt lgkmcnt(1)
	;;#ASMSTART
	v_dot2_f32_f16 v102, v1, v5, v102
	;;#ASMEND
	;;#ASMSTART
	v_dot2_f32_f16 v102, v2, v6, v102
	;;#ASMEND
	;;#ASMSTART
	v_dot2_f32_f16 v102, v3, v7, v102
	;;#ASMEND
	;;#ASMSTART
	v_dot2_f32_f16 v102, v4, v8, v102
	;;#ASMEND
	s_waitcnt lgkmcnt(0)
	;;#ASMSTART
	v_dot2_f32_f16 v103, v9, v5, v103
	;;#ASMEND
	;;#ASMSTART
	v_dot2_f32_f16 v103, v10, v6, v103
	;;#ASMEND
	;;#ASMSTART
	v_dot2_f32_f16 v103, v11, v7, v103
	;;#ASMEND
	;;#ASMSTART
	v_dot2_f32_f16 v103, v12, v8, v103
	;;#ASMEND
	ds_read_b128 v[1:4], v81 offset:32
	ds_read_b128 v[5:8], v68 offset:32
	;; [unrolled: 29-line block ×7, first 2 shown]
	ds_read_b128 v[9:12], v81 offset:4720
	s_waitcnt lgkmcnt(1)
	;;#ASMSTART
	v_dot2_f32_f16 v102, v1, v5, v102
	;;#ASMEND
	;;#ASMSTART
	v_dot2_f32_f16 v102, v2, v6, v102
	;;#ASMEND
	;; [unrolled: 3-line block ×4, first 2 shown]
	s_waitcnt lgkmcnt(0)
	;;#ASMSTART
	v_dot2_f32_f16 v103, v9, v5, v103
	;;#ASMEND
	;;#ASMSTART
	v_dot2_f32_f16 v103, v10, v6, v103
	;;#ASMEND
	;; [unrolled: 3-line block ×4, first 2 shown]
	s_barrier
	buffer_gl0_inv
	s_clause 0x2
	global_load_dwordx4 v[1:4], v[49:50], off offset:128
	global_load_dwordx4 v[5:8], v[43:44], off offset:128
	global_load_dwordx4 v[9:12], v[45:46], off offset:128
	v_add_co_ci_u32_e64 v14, null, s1, v28, vcc_lo
	s_lshl_b64 s[0:1], s[18:19], 2
	v_add_co_u32 v13, vcc_lo, v110, v80
	s_add_u32 s2, s3, s0
	v_add_co_u32 v15, s0, v109, v80
	v_add_co_ci_u32_e64 v16, null, 0, v14, s0
	v_add_co_ci_u32_e64 v14, null, 0, v111, vcc_lo
	v_add_co_u32 v109, vcc_lo, s2, v27
	v_add_co_u32 v110, s0, s2, v29
	s_addc_u32 s1, s12, s1
	s_waitcnt vmcnt(2)
	ds_write_b128 v76, v[1:4]
	global_load_dwordx4 v[1:4], v[47:48], off offset:128
	s_waitcnt vmcnt(2)
	ds_write_b128 v77, v[5:8]
	s_waitcnt vmcnt(1)
	ds_write_b128 v78, v[9:12]
	;; [unrolled: 2-line block ×3, first 2 shown]
	s_waitcnt lgkmcnt(0)
	s_barrier
	buffer_gl0_inv
	ds_read_b128 v[1:4], v81
	ds_read_b128 v[5:8], v68 offset:128
	ds_read_b128 v[9:12], v81 offset:4608
	s_waitcnt lgkmcnt(1)
	;;#ASMSTART
	v_dot2_f32_f16 v102, v1, v5, v102
	;;#ASMEND
	;;#ASMSTART
	v_dot2_f32_f16 v102, v2, v6, v102
	;;#ASMEND
	;;#ASMSTART
	v_dot2_f32_f16 v102, v3, v7, v102
	;;#ASMEND
	;;#ASMSTART
	v_dot2_f32_f16 v102, v4, v8, v102
	;;#ASMEND
	s_waitcnt lgkmcnt(0)
	;;#ASMSTART
	v_dot2_f32_f16 v103, v9, v5, v103
	;;#ASMEND
	;;#ASMSTART
	v_dot2_f32_f16 v103, v10, v6, v103
	;;#ASMEND
	;;#ASMSTART
	v_dot2_f32_f16 v103, v11, v7, v103
	;;#ASMEND
	;;#ASMSTART
	v_dot2_f32_f16 v103, v12, v8, v103
	;;#ASMEND
	ds_read_b128 v[1:4], v81 offset:16
	ds_read_b128 v[5:8], v68 offset:144
	ds_read_b128 v[9:12], v81 offset:4624
	s_waitcnt lgkmcnt(1)
	;;#ASMSTART
	v_dot2_f32_f16 v102, v1, v5, v102
	;;#ASMEND
	;;#ASMSTART
	v_dot2_f32_f16 v102, v2, v6, v102
	;;#ASMEND
	;;#ASMSTART
	v_dot2_f32_f16 v102, v3, v7, v102
	;;#ASMEND
	;;#ASMSTART
	v_dot2_f32_f16 v102, v4, v8, v102
	;;#ASMEND
	s_waitcnt lgkmcnt(0)
	;;#ASMSTART
	v_dot2_f32_f16 v103, v9, v5, v103
	;;#ASMEND
	;;#ASMSTART
	v_dot2_f32_f16 v103, v10, v6, v103
	;;#ASMEND
	;;#ASMSTART
	v_dot2_f32_f16 v103, v11, v7, v103
	;;#ASMEND
	;;#ASMSTART
	v_dot2_f32_f16 v103, v12, v8, v103
	;;#ASMEND
	ds_read_b128 v[1:4], v81 offset:32
	;; [unrolled: 29-line block ×7, first 2 shown]
	ds_read_b128 v[5:8], v68 offset:240
	ds_read_b128 v[9:12], v81 offset:4720
	s_waitcnt lgkmcnt(1)
	;;#ASMSTART
	v_dot2_f32_f16 v102, v1, v5, v102
	;;#ASMEND
	;;#ASMSTART
	v_dot2_f32_f16 v102, v2, v6, v102
	;;#ASMEND
	;; [unrolled: 3-line block ×4, first 2 shown]
	s_waitcnt lgkmcnt(0)
	;;#ASMSTART
	v_dot2_f32_f16 v103, v9, v5, v103
	;;#ASMEND
	;;#ASMSTART
	v_dot2_f32_f16 v103, v10, v6, v103
	;;#ASMEND
	;;#ASMSTART
	v_dot2_f32_f16 v103, v11, v7, v103
	;;#ASMEND
	;;#ASMSTART
	v_dot2_f32_f16 v103, v12, v8, v103
	;;#ASMEND
	s_barrier
	buffer_gl0_inv
	s_clause 0x2
	global_load_dwordx4 v[1:4], v[49:50], off offset:256
	global_load_dwordx4 v[5:8], v[43:44], off offset:256
	;; [unrolled: 1-line block ×3, first 2 shown]
	s_waitcnt vmcnt(2)
	ds_write_b128 v76, v[1:4]
	global_load_dwordx4 v[1:4], v[47:48], off offset:256
	s_waitcnt vmcnt(2)
	ds_write_b128 v77, v[5:8]
	s_waitcnt vmcnt(1)
	ds_write_b128 v78, v[9:12]
	;; [unrolled: 2-line block ×3, first 2 shown]
	s_waitcnt lgkmcnt(0)
	s_barrier
	buffer_gl0_inv
	ds_read_b128 v[1:4], v81
	ds_read_b128 v[5:8], v68 offset:256
	ds_read_b128 v[9:12], v81 offset:4608
	s_waitcnt lgkmcnt(1)
	;;#ASMSTART
	v_dot2_f32_f16 v102, v1, v5, v102
	;;#ASMEND
	;;#ASMSTART
	v_dot2_f32_f16 v102, v2, v6, v102
	;;#ASMEND
	;;#ASMSTART
	v_dot2_f32_f16 v102, v3, v7, v102
	;;#ASMEND
	;;#ASMSTART
	v_dot2_f32_f16 v102, v4, v8, v102
	;;#ASMEND
	s_waitcnt lgkmcnt(0)
	;;#ASMSTART
	v_dot2_f32_f16 v103, v9, v5, v103
	;;#ASMEND
	;;#ASMSTART
	v_dot2_f32_f16 v103, v10, v6, v103
	;;#ASMEND
	;;#ASMSTART
	v_dot2_f32_f16 v103, v11, v7, v103
	;;#ASMEND
	;;#ASMSTART
	v_dot2_f32_f16 v103, v12, v8, v103
	;;#ASMEND
	ds_read_b128 v[1:4], v81 offset:16
	ds_read_b128 v[5:8], v68 offset:272
	ds_read_b128 v[9:12], v81 offset:4624
	s_waitcnt lgkmcnt(1)
	;;#ASMSTART
	v_dot2_f32_f16 v102, v1, v5, v102
	;;#ASMEND
	;;#ASMSTART
	v_dot2_f32_f16 v102, v2, v6, v102
	;;#ASMEND
	;;#ASMSTART
	v_dot2_f32_f16 v102, v3, v7, v102
	;;#ASMEND
	;;#ASMSTART
	v_dot2_f32_f16 v102, v4, v8, v102
	;;#ASMEND
	s_waitcnt lgkmcnt(0)
	;;#ASMSTART
	v_dot2_f32_f16 v103, v9, v5, v103
	;;#ASMEND
	;;#ASMSTART
	v_dot2_f32_f16 v103, v10, v6, v103
	;;#ASMEND
	;;#ASMSTART
	v_dot2_f32_f16 v103, v11, v7, v103
	;;#ASMEND
	;;#ASMSTART
	v_dot2_f32_f16 v103, v12, v8, v103
	;;#ASMEND
	ds_read_b128 v[1:4], v81 offset:32
	;; [unrolled: 29-line block ×7, first 2 shown]
	ds_read_b128 v[5:8], v68 offset:368
	ds_read_b128 v[9:12], v81 offset:4720
	s_waitcnt lgkmcnt(1)
	;;#ASMSTART
	v_dot2_f32_f16 v102, v1, v5, v102
	;;#ASMEND
	;;#ASMSTART
	v_dot2_f32_f16 v102, v2, v6, v102
	;;#ASMEND
	;; [unrolled: 3-line block ×4, first 2 shown]
	s_waitcnt lgkmcnt(0)
	;;#ASMSTART
	v_dot2_f32_f16 v103, v9, v5, v103
	;;#ASMEND
	;;#ASMSTART
	v_dot2_f32_f16 v103, v10, v6, v103
	;;#ASMEND
	;; [unrolled: 3-line block ×4, first 2 shown]
	s_barrier
	buffer_gl0_inv
	s_clause 0x2
	global_load_dwordx4 v[1:4], v[49:50], off offset:384
	global_load_dwordx4 v[5:8], v[43:44], off offset:384
	;; [unrolled: 1-line block ×3, first 2 shown]
	s_waitcnt vmcnt(2)
	ds_write_b128 v76, v[1:4]
	global_load_dwordx4 v[1:4], v[47:48], off offset:384
	s_waitcnt vmcnt(2)
	ds_write_b128 v77, v[5:8]
	s_waitcnt vmcnt(1)
	ds_write_b128 v78, v[9:12]
	s_waitcnt vmcnt(0)
	ds_write_b128 v79, v[1:4]
	s_waitcnt lgkmcnt(0)
	s_barrier
	buffer_gl0_inv
	ds_read_b128 v[1:4], v81
	ds_read_b128 v[5:8], v68 offset:384
	ds_read_b128 v[9:12], v81 offset:4608
	s_waitcnt lgkmcnt(1)
	;;#ASMSTART
	v_dot2_f32_f16 v102, v1, v5, v102
	;;#ASMEND
	;;#ASMSTART
	v_dot2_f32_f16 v102, v2, v6, v102
	;;#ASMEND
	;;#ASMSTART
	v_dot2_f32_f16 v102, v3, v7, v102
	;;#ASMEND
	;;#ASMSTART
	v_dot2_f32_f16 v102, v4, v8, v102
	;;#ASMEND
	s_waitcnt lgkmcnt(0)
	;;#ASMSTART
	v_dot2_f32_f16 v103, v9, v5, v103
	;;#ASMEND
	;;#ASMSTART
	v_dot2_f32_f16 v103, v10, v6, v103
	;;#ASMEND
	;;#ASMSTART
	v_dot2_f32_f16 v103, v11, v7, v103
	;;#ASMEND
	;;#ASMSTART
	v_dot2_f32_f16 v103, v12, v8, v103
	;;#ASMEND
	ds_read_b128 v[1:4], v81 offset:16
	ds_read_b128 v[5:8], v68 offset:400
	ds_read_b128 v[9:12], v81 offset:4624
	s_waitcnt lgkmcnt(1)
	;;#ASMSTART
	v_dot2_f32_f16 v102, v1, v5, v102
	;;#ASMEND
	;;#ASMSTART
	v_dot2_f32_f16 v102, v2, v6, v102
	;;#ASMEND
	;;#ASMSTART
	v_dot2_f32_f16 v102, v3, v7, v102
	;;#ASMEND
	;;#ASMSTART
	v_dot2_f32_f16 v102, v4, v8, v102
	;;#ASMEND
	s_waitcnt lgkmcnt(0)
	;;#ASMSTART
	v_dot2_f32_f16 v103, v9, v5, v103
	;;#ASMEND
	;;#ASMSTART
	v_dot2_f32_f16 v103, v10, v6, v103
	;;#ASMEND
	;;#ASMSTART
	v_dot2_f32_f16 v103, v11, v7, v103
	;;#ASMEND
	;;#ASMSTART
	v_dot2_f32_f16 v103, v12, v8, v103
	;;#ASMEND
	ds_read_b128 v[1:4], v81 offset:32
	;; [unrolled: 29-line block ×7, first 2 shown]
	ds_read_b128 v[5:8], v68 offset:496
	ds_read_b128 v[9:12], v81 offset:4720
	s_waitcnt lgkmcnt(1)
	;;#ASMSTART
	v_dot2_f32_f16 v102, v1, v5, v102
	;;#ASMEND
	;;#ASMSTART
	v_dot2_f32_f16 v102, v2, v6, v102
	;;#ASMEND
	;; [unrolled: 3-line block ×4, first 2 shown]
	s_waitcnt lgkmcnt(0)
	;;#ASMSTART
	v_dot2_f32_f16 v103, v9, v5, v103
	;;#ASMEND
	;;#ASMSTART
	v_dot2_f32_f16 v103, v10, v6, v103
	;;#ASMEND
	;; [unrolled: 3-line block ×4, first 2 shown]
	s_barrier
	buffer_gl0_inv
	s_clause 0x2
	global_load_dwordx4 v[1:4], v[49:50], off offset:512
	global_load_dwordx4 v[5:8], v[43:44], off offset:512
	;; [unrolled: 1-line block ×3, first 2 shown]
	s_waitcnt vmcnt(2)
	ds_write_b128 v76, v[1:4]
	global_load_dwordx4 v[1:4], v[47:48], off offset:512
	s_waitcnt vmcnt(2)
	ds_write_b128 v77, v[5:8]
	s_waitcnt vmcnt(1)
	ds_write_b128 v78, v[9:12]
	;; [unrolled: 2-line block ×3, first 2 shown]
	s_waitcnt lgkmcnt(0)
	s_barrier
	buffer_gl0_inv
	ds_read_b128 v[1:4], v81
	ds_read_b128 v[5:8], v68 offset:512
	ds_read_b128 v[9:12], v81 offset:4608
	s_waitcnt lgkmcnt(1)
	;;#ASMSTART
	v_dot2_f32_f16 v102, v1, v5, v102
	;;#ASMEND
	;;#ASMSTART
	v_dot2_f32_f16 v102, v2, v6, v102
	;;#ASMEND
	;;#ASMSTART
	v_dot2_f32_f16 v102, v3, v7, v102
	;;#ASMEND
	;;#ASMSTART
	v_dot2_f32_f16 v102, v4, v8, v102
	;;#ASMEND
	s_waitcnt lgkmcnt(0)
	;;#ASMSTART
	v_dot2_f32_f16 v103, v9, v5, v103
	;;#ASMEND
	;;#ASMSTART
	v_dot2_f32_f16 v103, v10, v6, v103
	;;#ASMEND
	;;#ASMSTART
	v_dot2_f32_f16 v103, v11, v7, v103
	;;#ASMEND
	;;#ASMSTART
	v_dot2_f32_f16 v103, v12, v8, v103
	;;#ASMEND
	ds_read_b128 v[1:4], v81 offset:16
	ds_read_b128 v[5:8], v68 offset:528
	ds_read_b128 v[9:12], v81 offset:4624
	s_waitcnt lgkmcnt(1)
	;;#ASMSTART
	v_dot2_f32_f16 v102, v1, v5, v102
	;;#ASMEND
	;;#ASMSTART
	v_dot2_f32_f16 v102, v2, v6, v102
	;;#ASMEND
	;;#ASMSTART
	v_dot2_f32_f16 v102, v3, v7, v102
	;;#ASMEND
	;;#ASMSTART
	v_dot2_f32_f16 v102, v4, v8, v102
	;;#ASMEND
	s_waitcnt lgkmcnt(0)
	;;#ASMSTART
	v_dot2_f32_f16 v103, v9, v5, v103
	;;#ASMEND
	;;#ASMSTART
	v_dot2_f32_f16 v103, v10, v6, v103
	;;#ASMEND
	;;#ASMSTART
	v_dot2_f32_f16 v103, v11, v7, v103
	;;#ASMEND
	;;#ASMSTART
	v_dot2_f32_f16 v103, v12, v8, v103
	;;#ASMEND
	ds_read_b128 v[1:4], v81 offset:32
	;; [unrolled: 29-line block ×7, first 2 shown]
	ds_read_b128 v[5:8], v68 offset:624
	ds_read_b128 v[9:12], v81 offset:4720
	s_waitcnt lgkmcnt(1)
	;;#ASMSTART
	v_dot2_f32_f16 v102, v1, v5, v102
	;;#ASMEND
	;;#ASMSTART
	v_dot2_f32_f16 v102, v2, v6, v102
	;;#ASMEND
	;; [unrolled: 3-line block ×4, first 2 shown]
	s_waitcnt lgkmcnt(0)
	;;#ASMSTART
	v_dot2_f32_f16 v103, v9, v5, v103
	;;#ASMEND
	;;#ASMSTART
	v_dot2_f32_f16 v103, v10, v6, v103
	;;#ASMEND
	;; [unrolled: 3-line block ×4, first 2 shown]
	s_barrier
	buffer_gl0_inv
	s_clause 0x2
	global_load_dwordx4 v[1:4], v[49:50], off offset:640
	global_load_dwordx4 v[5:8], v[43:44], off offset:640
	;; [unrolled: 1-line block ×3, first 2 shown]
	s_waitcnt vmcnt(2)
	ds_write_b128 v76, v[1:4]
	global_load_dwordx4 v[1:4], v[47:48], off offset:640
	s_waitcnt vmcnt(2)
	ds_write_b128 v77, v[5:8]
	s_waitcnt vmcnt(1)
	ds_write_b128 v78, v[9:12]
	;; [unrolled: 2-line block ×3, first 2 shown]
	s_waitcnt lgkmcnt(0)
	s_barrier
	buffer_gl0_inv
	ds_read_b128 v[1:4], v81
	ds_read_b128 v[5:8], v68 offset:640
	ds_read_b128 v[9:12], v81 offset:4608
	s_waitcnt lgkmcnt(1)
	;;#ASMSTART
	v_dot2_f32_f16 v102, v1, v5, v102
	;;#ASMEND
	;;#ASMSTART
	v_dot2_f32_f16 v102, v2, v6, v102
	;;#ASMEND
	;;#ASMSTART
	v_dot2_f32_f16 v102, v3, v7, v102
	;;#ASMEND
	;;#ASMSTART
	v_dot2_f32_f16 v102, v4, v8, v102
	;;#ASMEND
	s_waitcnt lgkmcnt(0)
	;;#ASMSTART
	v_dot2_f32_f16 v103, v9, v5, v103
	;;#ASMEND
	;;#ASMSTART
	v_dot2_f32_f16 v103, v10, v6, v103
	;;#ASMEND
	;;#ASMSTART
	v_dot2_f32_f16 v103, v11, v7, v103
	;;#ASMEND
	;;#ASMSTART
	v_dot2_f32_f16 v103, v12, v8, v103
	;;#ASMEND
	ds_read_b128 v[1:4], v81 offset:16
	ds_read_b128 v[5:8], v68 offset:656
	ds_read_b128 v[9:12], v81 offset:4624
	s_waitcnt lgkmcnt(1)
	;;#ASMSTART
	v_dot2_f32_f16 v102, v1, v5, v102
	;;#ASMEND
	;;#ASMSTART
	v_dot2_f32_f16 v102, v2, v6, v102
	;;#ASMEND
	;;#ASMSTART
	v_dot2_f32_f16 v102, v3, v7, v102
	;;#ASMEND
	;;#ASMSTART
	v_dot2_f32_f16 v102, v4, v8, v102
	;;#ASMEND
	s_waitcnt lgkmcnt(0)
	;;#ASMSTART
	v_dot2_f32_f16 v103, v9, v5, v103
	;;#ASMEND
	;;#ASMSTART
	v_dot2_f32_f16 v103, v10, v6, v103
	;;#ASMEND
	;;#ASMSTART
	v_dot2_f32_f16 v103, v11, v7, v103
	;;#ASMEND
	;;#ASMSTART
	v_dot2_f32_f16 v103, v12, v8, v103
	;;#ASMEND
	ds_read_b128 v[1:4], v81 offset:32
	;; [unrolled: 29-line block ×7, first 2 shown]
	ds_read_b128 v[5:8], v68 offset:752
	ds_read_b128 v[9:12], v81 offset:4720
	s_waitcnt lgkmcnt(1)
	;;#ASMSTART
	v_dot2_f32_f16 v102, v1, v5, v102
	;;#ASMEND
	;;#ASMSTART
	v_dot2_f32_f16 v102, v2, v6, v102
	;;#ASMEND
	;; [unrolled: 3-line block ×4, first 2 shown]
	s_waitcnt lgkmcnt(0)
	;;#ASMSTART
	v_dot2_f32_f16 v103, v9, v5, v103
	;;#ASMEND
	;;#ASMSTART
	v_dot2_f32_f16 v103, v10, v6, v103
	;;#ASMEND
	;; [unrolled: 3-line block ×4, first 2 shown]
	s_barrier
	buffer_gl0_inv
	s_clause 0x2
	global_load_dwordx4 v[1:4], v[49:50], off offset:768
	global_load_dwordx4 v[5:8], v[43:44], off offset:768
	;; [unrolled: 1-line block ×3, first 2 shown]
	s_waitcnt vmcnt(2)
	ds_write_b128 v76, v[1:4]
	global_load_dwordx4 v[1:4], v[47:48], off offset:768
	s_waitcnt vmcnt(2)
	ds_write_b128 v77, v[5:8]
	s_waitcnt vmcnt(1)
	ds_write_b128 v78, v[9:12]
	;; [unrolled: 2-line block ×3, first 2 shown]
	s_waitcnt lgkmcnt(0)
	s_barrier
	buffer_gl0_inv
	ds_read_b128 v[1:4], v81
	ds_read_b128 v[5:8], v68 offset:768
	ds_read_b128 v[9:12], v81 offset:4608
	s_waitcnt lgkmcnt(1)
	;;#ASMSTART
	v_dot2_f32_f16 v102, v1, v5, v102
	;;#ASMEND
	;;#ASMSTART
	v_dot2_f32_f16 v102, v2, v6, v102
	;;#ASMEND
	;;#ASMSTART
	v_dot2_f32_f16 v102, v3, v7, v102
	;;#ASMEND
	;;#ASMSTART
	v_dot2_f32_f16 v102, v4, v8, v102
	;;#ASMEND
	s_waitcnt lgkmcnt(0)
	;;#ASMSTART
	v_dot2_f32_f16 v103, v9, v5, v103
	;;#ASMEND
	;;#ASMSTART
	v_dot2_f32_f16 v103, v10, v6, v103
	;;#ASMEND
	;;#ASMSTART
	v_dot2_f32_f16 v103, v11, v7, v103
	;;#ASMEND
	;;#ASMSTART
	v_dot2_f32_f16 v103, v12, v8, v103
	;;#ASMEND
	ds_read_b128 v[1:4], v81 offset:16
	ds_read_b128 v[5:8], v68 offset:784
	ds_read_b128 v[9:12], v81 offset:4624
	s_waitcnt lgkmcnt(1)
	;;#ASMSTART
	v_dot2_f32_f16 v102, v1, v5, v102
	;;#ASMEND
	;;#ASMSTART
	v_dot2_f32_f16 v102, v2, v6, v102
	;;#ASMEND
	;;#ASMSTART
	v_dot2_f32_f16 v102, v3, v7, v102
	;;#ASMEND
	;;#ASMSTART
	v_dot2_f32_f16 v102, v4, v8, v102
	;;#ASMEND
	s_waitcnt lgkmcnt(0)
	;;#ASMSTART
	v_dot2_f32_f16 v103, v9, v5, v103
	;;#ASMEND
	;;#ASMSTART
	v_dot2_f32_f16 v103, v10, v6, v103
	;;#ASMEND
	;;#ASMSTART
	v_dot2_f32_f16 v103, v11, v7, v103
	;;#ASMEND
	;;#ASMSTART
	v_dot2_f32_f16 v103, v12, v8, v103
	;;#ASMEND
	ds_read_b128 v[1:4], v81 offset:32
	;; [unrolled: 29-line block ×7, first 2 shown]
	ds_read_b128 v[5:8], v68 offset:880
	ds_read_b128 v[9:12], v81 offset:4720
	s_waitcnt lgkmcnt(1)
	;;#ASMSTART
	v_dot2_f32_f16 v102, v1, v5, v102
	;;#ASMEND
	;;#ASMSTART
	v_dot2_f32_f16 v102, v2, v6, v102
	;;#ASMEND
	;; [unrolled: 3-line block ×4, first 2 shown]
	s_waitcnt lgkmcnt(0)
	;;#ASMSTART
	v_dot2_f32_f16 v103, v9, v5, v103
	;;#ASMEND
	;;#ASMSTART
	v_dot2_f32_f16 v103, v10, v6, v103
	;;#ASMEND
	;; [unrolled: 3-line block ×4, first 2 shown]
	s_barrier
	buffer_gl0_inv
	s_clause 0x2
	global_load_dwordx4 v[1:4], v[49:50], off offset:896
	global_load_dwordx4 v[5:8], v[43:44], off offset:896
	;; [unrolled: 1-line block ×3, first 2 shown]
	s_waitcnt vmcnt(2)
	ds_write_b128 v76, v[1:4]
	global_load_dwordx4 v[1:4], v[47:48], off offset:896
	s_waitcnt vmcnt(2)
	ds_write_b128 v77, v[5:8]
	s_waitcnt vmcnt(1)
	ds_write_b128 v78, v[9:12]
	;; [unrolled: 2-line block ×3, first 2 shown]
	s_waitcnt lgkmcnt(0)
	s_barrier
	buffer_gl0_inv
	ds_read_b128 v[1:4], v81
	ds_read_b128 v[5:8], v68 offset:896
	ds_read_b128 v[9:12], v81 offset:4608
	s_waitcnt lgkmcnt(1)
	;;#ASMSTART
	v_dot2_f32_f16 v102, v1, v5, v102
	;;#ASMEND
	;;#ASMSTART
	v_dot2_f32_f16 v102, v2, v6, v102
	;;#ASMEND
	;;#ASMSTART
	v_dot2_f32_f16 v102, v3, v7, v102
	;;#ASMEND
	;;#ASMSTART
	v_dot2_f32_f16 v102, v4, v8, v102
	;;#ASMEND
	s_waitcnt lgkmcnt(0)
	;;#ASMSTART
	v_dot2_f32_f16 v103, v9, v5, v103
	;;#ASMEND
	;;#ASMSTART
	v_dot2_f32_f16 v103, v10, v6, v103
	;;#ASMEND
	;;#ASMSTART
	v_dot2_f32_f16 v103, v11, v7, v103
	;;#ASMEND
	;;#ASMSTART
	v_dot2_f32_f16 v103, v12, v8, v103
	;;#ASMEND
	ds_read_b128 v[1:4], v81 offset:16
	ds_read_b128 v[5:8], v68 offset:912
	ds_read_b128 v[9:12], v81 offset:4624
	s_waitcnt lgkmcnt(1)
	;;#ASMSTART
	v_dot2_f32_f16 v102, v1, v5, v102
	;;#ASMEND
	;;#ASMSTART
	v_dot2_f32_f16 v102, v2, v6, v102
	;;#ASMEND
	;;#ASMSTART
	v_dot2_f32_f16 v102, v3, v7, v102
	;;#ASMEND
	;;#ASMSTART
	v_dot2_f32_f16 v102, v4, v8, v102
	;;#ASMEND
	s_waitcnt lgkmcnt(0)
	;;#ASMSTART
	v_dot2_f32_f16 v103, v9, v5, v103
	;;#ASMEND
	;;#ASMSTART
	v_dot2_f32_f16 v103, v10, v6, v103
	;;#ASMEND
	;;#ASMSTART
	v_dot2_f32_f16 v103, v11, v7, v103
	;;#ASMEND
	;;#ASMSTART
	v_dot2_f32_f16 v103, v12, v8, v103
	;;#ASMEND
	ds_read_b128 v[1:4], v81 offset:32
	;; [unrolled: 29-line block ×7, first 2 shown]
	ds_read_b128 v[6:9], v68 offset:1008
	ds_read_b128 v[111:114], v81 offset:4720
	s_waitcnt lgkmcnt(1)
	;;#ASMSTART
	v_dot2_f32_f16 v102, v1, v6, v102
	;;#ASMEND
	;;#ASMSTART
	v_dot2_f32_f16 v102, v2, v7, v102
	;;#ASMEND
	;; [unrolled: 3-line block ×4, first 2 shown]
	s_waitcnt lgkmcnt(0)
	;;#ASMSTART
	v_dot2_f32_f16 v103, v111, v6, v103
	;;#ASMEND
	;;#ASMSTART
	v_dot2_f32_f16 v103, v112, v7, v103
	;;#ASMEND
	;; [unrolled: 3-line block ×3, first 2 shown]
	v_add_co_ci_u32_e64 v1, null, s1, v28, vcc_lo
	v_add_co_ci_u32_e64 v3, null, s1, v30, s0
	v_add_co_u32 v2, vcc_lo, v110, v80
	v_add_co_u32 v4, s0, v109, v80
	;;#ASMSTART
	v_dot2_f32_f16 v103, v114, v9, v103
	;;#ASMEND
	s_barrier
	buffer_gl0_inv
	s_clause 0x3
	global_load_dwordx4 v[6:9], v[49:50], off offset:1024
	global_load_dwordx4 v[109:112], v[43:44], off offset:1024
	;; [unrolled: 1-line block ×4, first 2 shown]
	v_add_co_ci_u32_e64 v5, null, 0, v1, s0
	v_add_co_ci_u32_e64 v3, null, 0, v3, vcc_lo
	s_waitcnt vmcnt(3)
	ds_write_b128 v76, v[6:9]
	s_waitcnt vmcnt(2)
	ds_write_b128 v77, v[109:112]
	;; [unrolled: 2-line block ×4, first 2 shown]
	s_waitcnt lgkmcnt(0)
	s_barrier
	buffer_gl0_inv
	ds_read_b128 v[6:9], v81
	ds_read_b128 v[43:46], v68 offset:1024
	ds_read_b128 v[47:50], v81 offset:4608
	s_waitcnt lgkmcnt(1)
	;;#ASMSTART
	v_dot2_f32_f16 v102, v6, v43, v102
	;;#ASMEND
	;;#ASMSTART
	v_dot2_f32_f16 v102, v7, v44, v102
	;;#ASMEND
	;;#ASMSTART
	v_dot2_f32_f16 v102, v8, v45, v102
	;;#ASMEND
	;;#ASMSTART
	v_dot2_f32_f16 v102, v9, v46, v102
	;;#ASMEND
	s_waitcnt lgkmcnt(0)
	;;#ASMSTART
	v_dot2_f32_f16 v103, v47, v43, v103
	;;#ASMEND
	;;#ASMSTART
	v_dot2_f32_f16 v103, v48, v44, v103
	;;#ASMEND
	;;#ASMSTART
	v_dot2_f32_f16 v103, v49, v45, v103
	;;#ASMEND
	;;#ASMSTART
	v_dot2_f32_f16 v103, v50, v46, v103
	;;#ASMEND
	ds_read_b128 v[6:9], v81 offset:16
	ds_read_b128 v[43:46], v68 offset:1040
	ds_read_b128 v[47:50], v81 offset:4624
	s_waitcnt lgkmcnt(1)
	;;#ASMSTART
	v_dot2_f32_f16 v102, v6, v43, v102
	;;#ASMEND
	;;#ASMSTART
	v_dot2_f32_f16 v102, v7, v44, v102
	;;#ASMEND
	;;#ASMSTART
	v_dot2_f32_f16 v102, v8, v45, v102
	;;#ASMEND
	;;#ASMSTART
	v_dot2_f32_f16 v102, v9, v46, v102
	;;#ASMEND
	s_waitcnt lgkmcnt(0)
	;;#ASMSTART
	v_dot2_f32_f16 v103, v47, v43, v103
	;;#ASMEND
	;;#ASMSTART
	v_dot2_f32_f16 v103, v48, v44, v103
	;;#ASMEND
	;;#ASMSTART
	v_dot2_f32_f16 v103, v49, v45, v103
	;;#ASMEND
	;;#ASMSTART
	v_dot2_f32_f16 v103, v50, v46, v103
	;;#ASMEND
	ds_read_b128 v[6:9], v81 offset:32
	;; [unrolled: 29-line block ×7, first 2 shown]
	ds_read_b128 v[43:46], v68 offset:1136
	ds_read_b128 v[47:50], v81 offset:4720
	s_waitcnt lgkmcnt(1)
	;;#ASMSTART
	v_dot2_f32_f16 v102, v6, v43, v102
	;;#ASMEND
	;;#ASMSTART
	v_dot2_f32_f16 v102, v7, v44, v102
	;;#ASMEND
	;; [unrolled: 3-line block ×4, first 2 shown]
	s_waitcnt lgkmcnt(0)
	;;#ASMSTART
	v_dot2_f32_f16 v103, v47, v43, v103
	;;#ASMEND
	;;#ASMSTART
	v_dot2_f32_f16 v103, v48, v44, v103
	;;#ASMEND
	;; [unrolled: 3-line block ×4, first 2 shown]
	s_clause 0x1
	global_load_ushort v1, v[55:56], off
	global_load_ushort v6, v[55:56], off offset:64
	s_waitcnt vmcnt(0)
	s_barrier
	buffer_gl0_inv
	s_clause 0x3
	global_load_dwordx4 v[8:11], v[35:36], off
	global_load_dwordx4 v[43:46], v[35:36], off offset:512
	global_load_dwordx4 v[47:50], v[33:34], off
	global_load_dwordx4 v[33:36], v[33:34], off offset:512
	v_cvt_f32_f16_e32 v1, v1
	v_cvt_f32_f16_e32 v6, v6
	v_add_f32_e32 v7, v102, v1
	v_add_f32_e32 v6, v103, v6
	;; [unrolled: 1-line block ×4, first 2 shown]
	v_max3_f32 v1, v101, v1, v12
	ds_bpermute_b32 v12, v108, v1
	s_waitcnt lgkmcnt(0)
	v_max_f32_e32 v12, v12, v12
	v_max_f32_e32 v1, v1, v12
	ds_bpermute_b32 v12, v107, v1
	s_waitcnt lgkmcnt(0)
	v_max_f32_e32 v12, v12, v12
	v_max_f32_e32 v1, v1, v12
	;; [unrolled: 4-line block ×5, first 2 shown]
	v_sub_f32_e32 v7, v7, v1
	v_sub_f32_e32 v6, v6, v1
	;; [unrolled: 1-line block ×3, first 2 shown]
	v_mul_f32_e32 v55, 0x3fb8aa3b, v7
	v_mul_f32_e32 v56, 0x3fb8aa3b, v6
	;; [unrolled: 1-line block ×3, first 2 shown]
	v_cmp_ngt_f32_e64 s1, 0xc2ce8ed0, v7
	v_cmp_ngt_f32_e32 vcc_lo, 0xc2ce8ed0, v6
	v_fma_f32 v102, 0x3fb8aa3b, v7, -v55
	v_rndne_f32_e32 v103, v55
	v_fma_f32 v104, 0x3fb8aa3b, v6, -v56
	v_rndne_f32_e32 v105, v56
	v_fma_f32 v106, 0x3fb8aa3b, v12, -v101
	v_fmac_f32_e32 v102, 0x32a5705f, v7
	v_sub_f32_e32 v55, v55, v103
	v_rndne_f32_e32 v107, v101
	v_fmac_f32_e32 v104, 0x32a5705f, v6
	v_sub_f32_e32 v56, v56, v105
	v_fmac_f32_e32 v106, 0x32a5705f, v12
	v_add_f32_e32 v55, v55, v102
	v_sub_f32_e32 v101, v101, v107
	v_cvt_i32_f32_e32 v103, v103
	v_add_f32_e32 v56, v56, v104
	v_cvt_i32_f32_e32 v105, v105
	v_exp_f32_e32 v55, v55
	v_add_f32_e32 v101, v101, v106
	v_cvt_i32_f32_e32 v107, v107
	v_exp_f32_e32 v56, v56
	v_cmp_ngt_f32_e64 s0, 0xc2ce8ed0, v12
	v_exp_f32_e32 v101, v101
	v_ldexp_f32 v55, v55, v103
	v_ldexp_f32 v56, v56, v105
	v_cndmask_b32_e64 v55, 0, v55, s1
	v_cmp_nlt_f32_e64 s1, 0x42b17218, v7
	v_ldexp_f32 v101, v101, v107
	v_cndmask_b32_e32 v56, 0, v56, vcc_lo
	v_cmp_nlt_f32_e32 vcc_lo, 0x42b17218, v6
	v_cndmask_b32_e64 v7, 0x7f800000, v55, s1
	v_cndmask_b32_e64 v6, 0, v101, s0
	v_cmp_nlt_f32_e64 s0, 0x42b17218, v12
	v_cndmask_b32_e32 v12, 0x7f800000, v56, vcc_lo
	v_cvt_f16_f32_e32 v55, v7
	v_cndmask_b32_e64 v6, 0x7f800000, v6, s0
	v_cvt_f16_f32_e32 v56, v12
	ds_write_b16 v84, v55
	ds_write_b16 v84, v56 offset:64
	s_waitcnt vmcnt(3)
	ds_write_b128 v83, v[8:11]
	s_waitcnt vmcnt(2)
	ds_write_b128 v85, v[43:46]
	;; [unrolled: 2-line block ×4, first 2 shown]
	s_waitcnt lgkmcnt(0)
	s_barrier
	buffer_gl0_inv
	ds_read_b128 v[8:11], v82
	ds_read2_b64 v[33:36], v67 offset1:32
	v_add_f32_e32 v7, v7, v12
	v_cvt_f16_f32_e32 v12, v6
	ds_read2_b64 v[43:46], v67 offset0:64 offset1:96
	ds_read2_b64 v[47:50], v67 offset0:128 offset1:160
	;; [unrolled: 1-line block ×3, first 2 shown]
	ds_read2_b64 v[105:108], v90 offset1:32
	v_mul_u32_u24_sdwa v12, v12, v89 dst_sel:DWORD dst_unused:UNUSED_PAD src0_sel:WORD_0 src1_sel:DWORD
	v_pk_mul_f16 v55, v98, v12
	v_pk_mul_f16 v56, v100, v12
	;; [unrolled: 1-line block ×6, first 2 shown]
	s_waitcnt lgkmcnt(5)
	v_mul_u32_u24_sdwa v98, v8, v89 dst_sel:DWORD dst_unused:UNUSED_PAD src0_sel:WORD_0 src1_sel:DWORD
	v_mul_u32_u24_sdwa v8, v8, v89 dst_sel:DWORD dst_unused:UNUSED_PAD src0_sel:WORD_1 src1_sel:DWORD
	s_waitcnt lgkmcnt(4)
	v_pk_mul_f16 v100, v33, v98
	v_pk_mul_f16 v109, v34, v98
	v_pk_fma_f16 v55, v35, v98, v55
	v_pk_fma_f16 v56, v36, v98, v56
	ds_read2_b64 v[33:36], v90 offset0:64 offset1:96
	s_waitcnt lgkmcnt(4)
	v_pk_fma_f16 v95, v43, v98, v95
	v_pk_fma_f16 v96, v44, v98, v96
	;; [unrolled: 1-line block ×6, first 2 shown]
	ds_read2_b64 v[43:46], v90 offset0:128 offset1:160
	s_waitcnt lgkmcnt(3)
	v_pk_fma_f16 v98, v101, v8, v95
	v_pk_fma_f16 v101, v102, v8, v96
	;; [unrolled: 1-line block ×4, first 2 shown]
	ds_read2_b64 v[93:96], v90 offset0:192 offset1:224
	v_pk_fma_f16 v55, v49, v8, v55
	v_pk_fma_f16 v56, v50, v8, v56
	;; [unrolled: 1-line block ×4, first 2 shown]
	v_mul_u32_u24_sdwa v12, v9, v89 dst_sel:DWORD dst_unused:UNUSED_PAD src0_sel:WORD_0 src1_sel:DWORD
	ds_read2_b64 v[47:50], v91 offset1:32
	v_mul_u32_u24_sdwa v9, v9, v89 dst_sel:DWORD dst_unused:UNUSED_PAD src0_sel:WORD_1 src1_sel:DWORD
	s_waitcnt lgkmcnt(3)
	v_pk_fma_f16 v104, v33, v12, v98
	v_pk_fma_f16 v101, v34, v12, v101
	v_pk_fma_f16 v102, v35, v12, v102
	v_pk_fma_f16 v103, v36, v12, v103
	ds_read2_b64 v[33:36], v91 offset0:64 offset1:96
	v_pk_fma_f16 v55, v107, v12, v55
	v_pk_fma_f16 v56, v108, v12, v56
	;; [unrolled: 1-line block ×4, first 2 shown]
	ds_read2_b64 v[97:100], v91 offset0:128 offset1:160
	s_waitcnt lgkmcnt(3)
	v_pk_fma_f16 v12, v93, v9, v104
	v_pk_fma_f16 v101, v94, v9, v101
	;; [unrolled: 1-line block ×4, first 2 shown]
	ds_read2_b64 v[93:96], v91 offset0:192 offset1:224
	v_pk_fma_f16 v55, v45, v9, v55
	v_pk_fma_f16 v56, v46, v9, v56
	;; [unrolled: 1-line block ×4, first 2 shown]
	v_mul_u32_u24_sdwa v9, v10, v89 dst_sel:DWORD dst_unused:UNUSED_PAD src0_sel:WORD_0 src1_sel:DWORD
	ds_read2_b64 v[43:46], v92 offset1:32
	s_waitcnt lgkmcnt(3)
	v_pk_fma_f16 v12, v33, v9, v12
	v_pk_fma_f16 v101, v34, v9, v101
	;; [unrolled: 1-line block ×4, first 2 shown]
	ds_read2_b64 v[33:36], v92 offset0:64 offset1:96
	v_pk_fma_f16 v55, v49, v9, v55
	v_pk_fma_f16 v56, v50, v9, v56
	;; [unrolled: 1-line block ×4, first 2 shown]
	v_mul_u32_u24_sdwa v9, v10, v89 dst_sel:DWORD dst_unused:UNUSED_PAD src0_sel:WORD_1 src1_sel:DWORD
	ds_read2_b64 v[47:50], v92 offset0:128 offset1:160
	s_waitcnt lgkmcnt(3)
	v_pk_fma_f16 v12, v93, v9, v12
	v_pk_fma_f16 v105, v94, v9, v101
	;; [unrolled: 1-line block ×4, first 2 shown]
	ds_read2_b64 v[93:96], v92 offset0:192 offset1:224
	s_waitcnt lgkmcnt(0)
	s_barrier
	buffer_gl0_inv
	v_pk_fma_f16 v55, v99, v9, v55
	v_pk_fma_f16 v56, v100, v9, v56
	;; [unrolled: 1-line block ×4, first 2 shown]
	s_clause 0x1
	global_load_dwordx4 v[97:100], v[37:38], off
	global_load_dwordx4 v[101:104], v[37:38], off offset:512
	v_mul_u32_u24_sdwa v37, v11, v89 dst_sel:DWORD dst_unused:UNUSED_PAD src0_sel:WORD_0 src1_sel:DWORD
	v_mul_u32_u24_sdwa v38, v11, v89 dst_sel:DWORD dst_unused:UNUSED_PAD src0_sel:WORD_1 src1_sel:DWORD
	global_load_dwordx4 v[8:11], v[31:32], off
	v_pk_fma_f16 v12, v33, v37, v12
	v_pk_fma_f16 v105, v34, v37, v105
	global_load_dwordx4 v[31:34], v[31:32], off offset:512
	v_pk_fma_f16 v35, v35, v37, v106
	v_pk_fma_f16 v36, v36, v37, v107
	v_pk_fma_f16 v45, v45, v37, v55
	v_pk_fma_f16 v46, v46, v37, v56
	v_pk_fma_f16 v43, v43, v37, v108
	v_pk_fma_f16 v37, v44, v37, v109
	v_pk_fma_f16 v12, v93, v38, v12
	v_pk_fma_f16 v55, v49, v38, v45
	v_pk_fma_f16 v56, v50, v38, v46
	v_pk_fma_f16 v105, v94, v38, v105
	v_pk_fma_f16 v106, v95, v38, v35
	v_pk_fma_f16 v107, v96, v38, v36
	v_pk_fma_f16 v108, v47, v38, v43
	v_pk_fma_f16 v109, v48, v38, v37
	s_waitcnt vmcnt(3)
	ds_write_b128 v83, v[97:100]
	s_waitcnt vmcnt(2)
	ds_write_b128 v85, v[101:104]
	;; [unrolled: 2-line block ×4, first 2 shown]
	s_waitcnt lgkmcnt(0)
	s_barrier
	buffer_gl0_inv
	ds_read_b128 v[8:11], v82 offset:16
	ds_read2_b64 v[31:34], v67 offset1:32
	ds_read2_b64 v[35:38], v67 offset0:64 offset1:96
	ds_read2_b64 v[43:46], v67 offset0:128 offset1:160
	;; [unrolled: 1-line block ×3, first 2 shown]
	ds_read2_b64 v[93:96], v90 offset1:32
	ds_read2_b64 v[97:100], v90 offset0:64 offset1:96
	s_waitcnt lgkmcnt(6)
	v_mul_u32_u24_sdwa v101, v8, v89 dst_sel:DWORD dst_unused:UNUSED_PAD src0_sel:WORD_0 src1_sel:DWORD
	v_mul_u32_u24_sdwa v8, v8, v89 dst_sel:DWORD dst_unused:UNUSED_PAD src0_sel:WORD_1 src1_sel:DWORD
	s_waitcnt lgkmcnt(5)
	v_pk_fma_f16 v102, v31, v101, v108
	v_pk_fma_f16 v103, v32, v101, v109
	;; [unrolled: 1-line block ×4, first 2 shown]
	ds_read2_b64 v[31:34], v90 offset0:128 offset1:160
	s_waitcnt lgkmcnt(5)
	v_pk_fma_f16 v12, v35, v101, v12
	v_pk_fma_f16 v104, v36, v101, v105
	;; [unrolled: 1-line block ×4, first 2 shown]
	ds_read2_b64 v[35:38], v90 offset0:192 offset1:224
	s_waitcnt lgkmcnt(5)
	v_pk_fma_f16 v102, v43, v8, v102
	v_pk_fma_f16 v103, v44, v8, v103
	;; [unrolled: 1-line block ×4, first 2 shown]
	ds_read2_b64 v[43:46], v91 offset1:32
	s_waitcnt lgkmcnt(5)
	v_pk_fma_f16 v12, v47, v8, v12
	v_pk_fma_f16 v104, v48, v8, v104
	;; [unrolled: 1-line block ×4, first 2 shown]
	ds_read2_b64 v[47:50], v91 offset0:64 offset1:96
	v_mul_u32_u24_sdwa v101, v9, v89 dst_sel:DWORD dst_unused:UNUSED_PAD src0_sel:WORD_0 src1_sel:DWORD
	v_mul_u32_u24_sdwa v9, v9, v89 dst_sel:DWORD dst_unused:UNUSED_PAD src0_sel:WORD_1 src1_sel:DWORD
	v_mul_u32_u24_sdwa v109, v11, v89 dst_sel:DWORD dst_unused:UNUSED_PAD src0_sel:WORD_1 src1_sel:DWORD
	s_waitcnt lgkmcnt(5)
	v_pk_fma_f16 v102, v93, v101, v102
	v_pk_fma_f16 v103, v94, v101, v103
	;; [unrolled: 1-line block ×4, first 2 shown]
	ds_read2_b64 v[93:96], v91 offset0:128 offset1:160
	s_waitcnt lgkmcnt(5)
	v_pk_fma_f16 v12, v97, v101, v12
	v_pk_fma_f16 v104, v98, v101, v104
	;; [unrolled: 1-line block ×4, first 2 shown]
	ds_read2_b64 v[97:100], v91 offset0:192 offset1:224
	s_waitcnt lgkmcnt(5)
	v_pk_fma_f16 v101, v31, v9, v102
	v_pk_fma_f16 v102, v32, v9, v103
	;; [unrolled: 1-line block ×4, first 2 shown]
	s_waitcnt lgkmcnt(4)
	v_pk_fma_f16 v12, v35, v9, v12
	v_pk_fma_f16 v103, v36, v9, v104
	;; [unrolled: 1-line block ×4, first 2 shown]
	v_mul_u32_u24_sdwa v9, v10, v89 dst_sel:DWORD dst_unused:UNUSED_PAD src0_sel:WORD_0 src1_sel:DWORD
	ds_read2_b64 v[31:34], v92 offset1:32
	ds_read2_b64 v[35:38], v92 offset0:64 offset1:96
	s_waitcnt lgkmcnt(5)
	v_pk_fma_f16 v101, v43, v9, v101
	v_pk_fma_f16 v102, v44, v9, v102
	;; [unrolled: 1-line block ×4, first 2 shown]
	s_waitcnt lgkmcnt(4)
	v_pk_fma_f16 v12, v47, v9, v12
	v_pk_fma_f16 v105, v48, v9, v103
	;; [unrolled: 1-line block ×4, first 2 shown]
	v_mul_u32_u24_sdwa v9, v10, v89 dst_sel:DWORD dst_unused:UNUSED_PAD src0_sel:WORD_1 src1_sel:DWORD
	ds_read2_b64 v[43:46], v92 offset0:128 offset1:160
	ds_read2_b64 v[47:50], v92 offset0:192 offset1:224
	s_waitcnt lgkmcnt(0)
	s_barrier
	buffer_gl0_inv
	v_pk_fma_f16 v107, v93, v9, v101
	v_pk_fma_f16 v108, v94, v9, v102
	;; [unrolled: 1-line block ×4, first 2 shown]
	s_clause 0x1
	global_load_dwordx4 v[93:96], v[41:42], off
	global_load_dwordx4 v[101:104], v[41:42], off offset:512
	v_pk_fma_f16 v12, v97, v9, v12
	v_pk_fma_f16 v41, v98, v9, v105
	;; [unrolled: 1-line block ×4, first 2 shown]
	global_load_dwordx4 v[97:100], v[39:40], off
	v_mul_u32_u24_sdwa v106, v11, v89 dst_sel:DWORD dst_unused:UNUSED_PAD src0_sel:WORD_0 src1_sel:DWORD
	global_load_dwordx4 v[8:11], v[39:40], off offset:512
	s_waitcnt vmcnt(3)
	ds_write_b128 v83, v[93:96]
	s_waitcnt vmcnt(2)
	ds_write_b128 v85, v[101:104]
	;; [unrolled: 2-line block ×4, first 2 shown]
	v_pk_fma_f16 v31, v31, v106, v107
	v_pk_fma_f16 v32, v32, v106, v108
	;; [unrolled: 1-line block ×16, first 2 shown]
	s_waitcnt lgkmcnt(0)
	s_barrier
	buffer_gl0_inv
	ds_read_b128 v[8:11], v82 offset:32
	ds_read2_b64 v[31:34], v67 offset1:32
	ds_read2_b64 v[35:38], v67 offset0:64 offset1:96
	ds_read2_b64 v[39:42], v67 offset0:128 offset1:160
	;; [unrolled: 1-line block ×3, first 2 shown]
	ds_read2_b64 v[47:50], v90 offset1:32
	ds_read2_b64 v[93:96], v90 offset0:64 offset1:96
	ds_read2_b64 v[97:100], v90 offset0:128 offset1:160
	s_waitcnt lgkmcnt(7)
	v_mul_u32_u24_sdwa v101, v8, v89 dst_sel:DWORD dst_unused:UNUSED_PAD src0_sel:WORD_0 src1_sel:DWORD
	v_mul_u32_u24_sdwa v8, v8, v89 dst_sel:DWORD dst_unused:UNUSED_PAD src0_sel:WORD_1 src1_sel:DWORD
	v_mul_u32_u24_sdwa v110, v11, v89 dst_sel:DWORD dst_unused:UNUSED_PAD src0_sel:WORD_1 src1_sel:DWORD
	s_waitcnt lgkmcnt(6)
	v_pk_fma_f16 v55, v31, v101, v55
	v_pk_fma_f16 v56, v32, v101, v56
	;; [unrolled: 1-line block ×4, first 2 shown]
	ds_read2_b64 v[31:34], v90 offset0:192 offset1:224
	s_waitcnt lgkmcnt(6)
	v_pk_fma_f16 v12, v35, v101, v12
	v_pk_fma_f16 v104, v36, v101, v107
	v_pk_fma_f16 v105, v37, v101, v108
	v_pk_fma_f16 v101, v38, v101, v109
	ds_read2_b64 v[35:38], v91 offset1:32
	s_waitcnt lgkmcnt(6)
	v_pk_fma_f16 v55, v39, v8, v55
	v_pk_fma_f16 v56, v40, v8, v56
	;; [unrolled: 1-line block ×4, first 2 shown]
	ds_read2_b64 v[39:42], v91 offset0:64 offset1:96
	s_waitcnt lgkmcnt(6)
	v_pk_fma_f16 v12, v43, v8, v12
	v_pk_fma_f16 v104, v44, v8, v104
	;; [unrolled: 1-line block ×4, first 2 shown]
	ds_read2_b64 v[43:46], v91 offset0:128 offset1:160
	v_mul_u32_u24_sdwa v101, v9, v89 dst_sel:DWORD dst_unused:UNUSED_PAD src0_sel:WORD_0 src1_sel:DWORD
	v_mul_u32_u24_sdwa v9, v9, v89 dst_sel:DWORD dst_unused:UNUSED_PAD src0_sel:WORD_1 src1_sel:DWORD
	v_mul_u32_u24_sdwa v108, v10, v89 dst_sel:DWORD dst_unused:UNUSED_PAD src0_sel:WORD_1 src1_sel:DWORD
	v_mul_u32_u24_sdwa v109, v11, v89 dst_sel:DWORD dst_unused:UNUSED_PAD src0_sel:WORD_0 src1_sel:DWORD
	s_waitcnt lgkmcnt(6)
	v_pk_fma_f16 v55, v47, v101, v55
	v_pk_fma_f16 v56, v48, v101, v56
	v_pk_fma_f16 v102, v49, v101, v102
	v_pk_fma_f16 v103, v50, v101, v103
	s_waitcnt lgkmcnt(5)
	v_pk_fma_f16 v12, v93, v101, v12
	v_pk_fma_f16 v104, v94, v101, v104
	v_pk_fma_f16 v105, v95, v101, v105
	v_pk_fma_f16 v8, v96, v101, v8
	;; [unrolled: 5-line block ×4, first 2 shown]
	v_mul_u32_u24_sdwa v9, v10, v89 dst_sel:DWORD dst_unused:UNUSED_PAD src0_sel:WORD_0 src1_sel:DWORD
	ds_read2_b64 v[47:50], v91 offset0:192 offset1:224
	ds_read2_b64 v[93:96], v92 offset1:32
	ds_read2_b64 v[97:100], v92 offset0:64 offset1:96
	ds_read2_b64 v[31:34], v92 offset0:128 offset1:160
	s_waitcnt lgkmcnt(6)
	v_pk_fma_f16 v105, v35, v9, v55
	v_pk_fma_f16 v106, v36, v9, v56
	;; [unrolled: 1-line block ×4, first 2 shown]
	ds_read2_b64 v[35:38], v92 offset0:192 offset1:224
	s_waitcnt lgkmcnt(0)
	s_barrier
	buffer_gl0_inv
	v_pk_fma_f16 v12, v39, v9, v12
	v_pk_fma_f16 v103, v40, v9, v103
	v_pk_fma_f16 v104, v41, v9, v104
	v_pk_fma_f16 v107, v42, v9, v8
	s_clause 0x1
	global_load_dwordx4 v[39:42], v[53:54], off
	global_load_dwordx4 v[53:56], v[53:54], off offset:512
	v_pk_fma_f16 v105, v43, v108, v105
	v_pk_fma_f16 v106, v44, v108, v106
	;; [unrolled: 1-line block ×4, first 2 shown]
	s_clause 0x1
	global_load_dwordx4 v[43:46], v[51:52], off
	global_load_dwordx4 v[8:11], v[51:52], off offset:512
	v_pk_fma_f16 v12, v47, v108, v12
	v_pk_fma_f16 v47, v48, v108, v103
	;; [unrolled: 1-line block ×20, first 2 shown]
	s_waitcnt vmcnt(3)
	ds_write_b128 v83, v[39:42]
	s_waitcnt vmcnt(2)
	ds_write_b128 v85, v[53:56]
	;; [unrolled: 2-line block ×4, first 2 shown]
	s_waitcnt lgkmcnt(0)
	s_barrier
	buffer_gl0_inv
	ds_read_b128 v[8:11], v82 offset:48
	ds_read2_b64 v[31:34], v67 offset1:32
	ds_read2_b64 v[35:38], v67 offset0:64 offset1:96
	ds_read2_b64 v[39:42], v67 offset0:128 offset1:160
	;; [unrolled: 1-line block ×3, first 2 shown]
	ds_read2_b64 v[47:50], v90 offset1:32
	ds_read2_b64 v[51:54], v90 offset0:64 offset1:96
	ds_read2_b64 v[93:96], v90 offset0:128 offset1:160
	;; [unrolled: 1-line block ×3, first 2 shown]
	s_waitcnt lgkmcnt(8)
	v_mul_u32_u24_sdwa v55, v8, v89 dst_sel:DWORD dst_unused:UNUSED_PAD src0_sel:WORD_0 src1_sel:DWORD
	v_mul_u32_u24_sdwa v8, v8, v89 dst_sel:DWORD dst_unused:UNUSED_PAD src0_sel:WORD_1 src1_sel:DWORD
	v_mul_u32_u24_sdwa v109, v11, v89 dst_sel:DWORD dst_unused:UNUSED_PAD src0_sel:WORD_0 src1_sel:DWORD
	v_mul_u32_u24_sdwa v110, v11, v89 dst_sel:DWORD dst_unused:UNUSED_PAD src0_sel:WORD_1 src1_sel:DWORD
	s_waitcnt lgkmcnt(7)
	v_pk_fma_f16 v56, v31, v55, v101
	v_pk_fma_f16 v101, v32, v55, v102
	;; [unrolled: 1-line block ×4, first 2 shown]
	ds_read2_b64 v[31:34], v91 offset1:32
	s_waitcnt lgkmcnt(7)
	v_pk_fma_f16 v12, v35, v55, v12
	v_pk_fma_f16 v104, v36, v55, v105
	v_pk_fma_f16 v105, v37, v55, v106
	v_pk_fma_f16 v55, v38, v55, v107
	ds_read2_b64 v[35:38], v91 offset0:64 offset1:96
	s_waitcnt lgkmcnt(7)
	v_pk_fma_f16 v56, v39, v8, v56
	v_pk_fma_f16 v101, v40, v8, v101
	;; [unrolled: 1-line block ×4, first 2 shown]
	s_waitcnt lgkmcnt(6)
	v_pk_fma_f16 v12, v43, v8, v12
	v_pk_fma_f16 v104, v44, v8, v104
	;; [unrolled: 1-line block ×4, first 2 shown]
	v_mul_u32_u24_sdwa v55, v9, v89 dst_sel:DWORD dst_unused:UNUSED_PAD src0_sel:WORD_0 src1_sel:DWORD
	v_mul_u32_u24_sdwa v9, v9, v89 dst_sel:DWORD dst_unused:UNUSED_PAD src0_sel:WORD_1 src1_sel:DWORD
	ds_read2_b64 v[39:42], v91 offset0:128 offset1:160
	ds_read2_b64 v[43:46], v91 offset0:192 offset1:224
	s_waitcnt lgkmcnt(7)
	v_pk_fma_f16 v56, v47, v55, v56
	v_pk_fma_f16 v101, v48, v55, v101
	v_pk_fma_f16 v102, v49, v55, v102
	v_pk_fma_f16 v103, v50, v55, v103
	s_waitcnt lgkmcnt(6)
	v_pk_fma_f16 v12, v51, v55, v12
	v_pk_fma_f16 v104, v52, v55, v104
	v_pk_fma_f16 v105, v53, v55, v105
	v_pk_fma_f16 v8, v54, v55, v8
	;; [unrolled: 5-line block ×4, first 2 shown]
	v_mul_u32_u24_sdwa v9, v10, v89 dst_sel:DWORD dst_unused:UNUSED_PAD src0_sel:WORD_0 src1_sel:DWORD
	ds_read2_b64 v[47:50], v92 offset1:32
	ds_read2_b64 v[51:54], v92 offset0:64 offset1:96
	ds_read2_b64 v[93:96], v92 offset0:128 offset1:160
	;; [unrolled: 1-line block ×3, first 2 shown]
	s_waitcnt lgkmcnt(0)
	s_barrier
	buffer_gl0_inv
	v_pk_fma_f16 v55, v31, v9, v55
	v_pk_fma_f16 v56, v32, v9, v56
	;; [unrolled: 1-line block ×4, first 2 shown]
	s_clause 0x1
	global_load_dwordx4 v[31:34], v[59:60], off
	global_load_dwordx4 v[101:104], v[59:60], off offset:512
	v_pk_fma_f16 v12, v35, v9, v12
	v_pk_fma_f16 v59, v36, v9, v106
	;; [unrolled: 1-line block ×4, first 2 shown]
	global_load_dwordx4 v[35:38], v[57:58], off
	v_mul_u32_u24_sdwa v106, v10, v89 dst_sel:DWORD dst_unused:UNUSED_PAD src0_sel:WORD_1 src1_sel:DWORD
	global_load_dwordx4 v[8:11], v[57:58], off offset:512
	s_waitcnt vmcnt(3)
	ds_write_b128 v83, v[31:34]
	s_waitcnt vmcnt(2)
	ds_write_b128 v85, v[101:104]
	s_waitcnt vmcnt(1)
	ds_write_b128 v86, v[35:38]
	s_waitcnt vmcnt(0)
	ds_write_b128 v87, v[8:11]
	v_pk_fma_f16 v39, v39, v106, v55
	v_pk_fma_f16 v40, v40, v106, v56
	;; [unrolled: 1-line block ×24, first 2 shown]
	s_waitcnt lgkmcnt(0)
	s_barrier
	buffer_gl0_inv
	ds_read_b128 v[8:11], v82 offset:64
	ds_read2_b64 v[31:34], v67 offset1:32
	ds_read2_b64 v[35:38], v67 offset0:64 offset1:96
	ds_read2_b64 v[39:42], v67 offset0:128 offset1:160
	ds_read2_b64 v[43:46], v67 offset0:192 offset1:224
	ds_read2_b64 v[47:50], v90 offset1:32
	ds_read2_b64 v[51:54], v90 offset0:64 offset1:96
	ds_read2_b64 v[55:58], v90 offset0:128 offset1:160
	;; [unrolled: 1-line block ×3, first 2 shown]
	ds_read2_b64 v[97:100], v91 offset1:32
	s_waitcnt lgkmcnt(9)
	v_mul_u32_u24_sdwa v101, v8, v89 dst_sel:DWORD dst_unused:UNUSED_PAD src0_sel:WORD_0 src1_sel:DWORD
	v_mul_u32_u24_sdwa v8, v8, v89 dst_sel:DWORD dst_unused:UNUSED_PAD src0_sel:WORD_1 src1_sel:DWORD
	s_waitcnt lgkmcnt(8)
	v_pk_fma_f16 v59, v31, v101, v59
	v_pk_fma_f16 v60, v32, v101, v60
	v_pk_fma_f16 v102, v33, v101, v105
	v_pk_fma_f16 v103, v34, v101, v106
	s_waitcnt lgkmcnt(7)
	v_pk_fma_f16 v12, v35, v101, v12
	v_pk_fma_f16 v104, v36, v101, v107
	v_pk_fma_f16 v105, v37, v101, v108
	v_pk_fma_f16 v101, v38, v101, v109
	;; [unrolled: 5-line block ×4, first 2 shown]
	v_mul_u32_u24_sdwa v101, v9, v89 dst_sel:DWORD dst_unused:UNUSED_PAD src0_sel:WORD_0 src1_sel:DWORD
	v_mul_u32_u24_sdwa v9, v9, v89 dst_sel:DWORD dst_unused:UNUSED_PAD src0_sel:WORD_1 src1_sel:DWORD
	v_mul_u32_u24_sdwa v106, v10, v89 dst_sel:DWORD dst_unused:UNUSED_PAD src0_sel:WORD_0 src1_sel:DWORD
	ds_read2_b64 v[31:34], v91 offset0:64 offset1:96
	ds_read2_b64 v[35:38], v91 offset0:128 offset1:160
	s_waitcnt lgkmcnt(6)
	v_pk_fma_f16 v59, v47, v101, v59
	v_pk_fma_f16 v60, v48, v101, v60
	v_pk_fma_f16 v102, v49, v101, v102
	v_pk_fma_f16 v103, v50, v101, v103
	s_waitcnt lgkmcnt(5)
	v_pk_fma_f16 v12, v51, v101, v12
	v_pk_fma_f16 v104, v52, v101, v104
	v_pk_fma_f16 v105, v53, v101, v105
	v_pk_fma_f16 v8, v54, v101, v8
	;; [unrolled: 5-line block ×3, first 2 shown]
	ds_read2_b64 v[39:42], v91 offset0:192 offset1:224
	ds_read2_b64 v[43:46], v92 offset1:32
	ds_read2_b64 v[47:50], v92 offset0:64 offset1:96
	ds_read2_b64 v[51:54], v92 offset0:128 offset1:160
	;; [unrolled: 1-line block ×3, first 2 shown]
	s_waitcnt lgkmcnt(0)
	s_barrier
	buffer_gl0_inv
	v_pk_fma_f16 v12, v93, v9, v12
	v_pk_fma_f16 v103, v94, v9, v104
	;; [unrolled: 1-line block ×4, first 2 shown]
	global_load_dwordx4 v[93:96], v[63:64], off
	v_mul_u32_u24_sdwa v107, v10, v89 dst_sel:DWORD dst_unused:UNUSED_PAD src0_sel:WORD_1 src1_sel:DWORD
	v_mul_u32_u24_sdwa v108, v11, v89 dst_sel:DWORD dst_unused:UNUSED_PAD src0_sel:WORD_0 src1_sel:DWORD
	v_mul_u32_u24_sdwa v109, v11, v89 dst_sel:DWORD dst_unused:UNUSED_PAD src0_sel:WORD_1 src1_sel:DWORD
	global_load_dwordx4 v[8:11], v[63:64], off offset:512
	v_pk_fma_f16 v63, v97, v106, v59
	v_pk_fma_f16 v64, v98, v106, v60
	;; [unrolled: 1-line block ×4, first 2 shown]
	s_clause 0x1
	global_load_dwordx4 v[97:100], v[61:62], off
	global_load_dwordx4 v[59:62], v[61:62], off offset:512
	v_pk_fma_f16 v12, v31, v106, v12
	v_pk_fma_f16 v31, v32, v106, v103
	;; [unrolled: 1-line block ×28, first 2 shown]
	s_waitcnt vmcnt(3)
	ds_write_b128 v83, v[93:96]
	s_waitcnt vmcnt(2)
	ds_write_b128 v85, v[8:11]
	;; [unrolled: 2-line block ×4, first 2 shown]
	s_waitcnt lgkmcnt(0)
	s_barrier
	buffer_gl0_inv
	ds_read_b128 v[8:11], v82 offset:80
	ds_read2_b64 v[31:34], v67 offset1:32
	ds_read2_b64 v[35:38], v67 offset0:64 offset1:96
	ds_read2_b64 v[39:42], v67 offset0:128 offset1:160
	ds_read2_b64 v[43:46], v67 offset0:192 offset1:224
	ds_read2_b64 v[47:50], v90 offset1:32
	ds_read2_b64 v[51:54], v90 offset0:64 offset1:96
	ds_read2_b64 v[55:58], v90 offset0:128 offset1:160
	;; [unrolled: 1-line block ×3, first 2 shown]
	ds_read2_b64 v[93:96], v91 offset1:32
	ds_read2_b64 v[97:100], v91 offset0:64 offset1:96
	s_waitcnt lgkmcnt(10)
	v_mul_u32_u24_sdwa v106, v8, v89 dst_sel:DWORD dst_unused:UNUSED_PAD src0_sel:WORD_0 src1_sel:DWORD
	v_mul_u32_u24_sdwa v8, v8, v89 dst_sel:DWORD dst_unused:UNUSED_PAD src0_sel:WORD_1 src1_sel:DWORD
	v_mul_u32_u24_sdwa v107, v10, v89 dst_sel:DWORD dst_unused:UNUSED_PAD src0_sel:WORD_0 src1_sel:DWORD
	v_mul_u32_u24_sdwa v108, v10, v89 dst_sel:DWORD dst_unused:UNUSED_PAD src0_sel:WORD_1 src1_sel:DWORD
	v_mul_u32_u24_sdwa v109, v11, v89 dst_sel:DWORD dst_unused:UNUSED_PAD src0_sel:WORD_0 src1_sel:DWORD
	s_waitcnt lgkmcnt(9)
	v_pk_fma_f16 v63, v31, v106, v63
	v_pk_fma_f16 v64, v32, v106, v64
	v_pk_fma_f16 v101, v33, v106, v101
	v_pk_fma_f16 v102, v34, v106, v102
	s_waitcnt lgkmcnt(8)
	v_pk_fma_f16 v12, v35, v106, v12
	v_pk_fma_f16 v103, v36, v106, v103
	v_pk_fma_f16 v104, v37, v106, v104
	v_pk_fma_f16 v105, v38, v106, v105
	;; [unrolled: 5-line block ×4, first 2 shown]
	v_mul_u32_u24_sdwa v105, v9, v89 dst_sel:DWORD dst_unused:UNUSED_PAD src0_sel:WORD_0 src1_sel:DWORD
	v_mul_u32_u24_sdwa v106, v9, v89 dst_sel:DWORD dst_unused:UNUSED_PAD src0_sel:WORD_1 src1_sel:DWORD
	ds_read2_b64 v[31:34], v91 offset0:128 offset1:160
	ds_read2_b64 v[35:38], v91 offset0:192 offset1:224
	ds_read2_b64 v[39:42], v92 offset1:32
	s_waitcnt lgkmcnt(8)
	v_pk_fma_f16 v63, v47, v105, v63
	v_pk_fma_f16 v64, v48, v105, v64
	v_pk_fma_f16 v101, v49, v105, v101
	v_pk_fma_f16 v102, v50, v105, v102
	s_waitcnt lgkmcnt(7)
	v_pk_fma_f16 v12, v51, v105, v12
	v_pk_fma_f16 v103, v52, v105, v103
	;; [unrolled: 1-line block ×4, first 2 shown]
	ds_read2_b64 v[43:46], v92 offset0:64 offset1:96
	ds_read2_b64 v[47:50], v92 offset0:128 offset1:160
	;; [unrolled: 1-line block ×3, first 2 shown]
	s_waitcnt lgkmcnt(0)
	s_barrier
	buffer_gl0_inv
	v_pk_fma_f16 v63, v55, v106, v63
	v_pk_fma_f16 v64, v56, v106, v64
	;; [unrolled: 1-line block ×4, first 2 shown]
	global_load_dwordx4 v[55:58], v[15:16], off
	v_mul_u32_u24_sdwa v110, v11, v89 dst_sel:DWORD dst_unused:UNUSED_PAD src0_sel:WORD_1 src1_sel:DWORD
	global_load_dwordx4 v[8:11], v[15:16], off offset:512
	v_pk_fma_f16 v16, v59, v106, v12
	v_pk_fma_f16 v103, v60, v106, v103
	;; [unrolled: 1-line block ×4, first 2 shown]
	s_clause 0x1
	global_load_dwordx4 v[59:62], v[13:14], off
	global_load_dwordx4 v[12:15], v[13:14], off offset:512
	v_mov_b32_e32 v106, v75
	v_mov_b32_e32 v75, v7
	v_pk_fma_f16 v7, v94, v107, v64
	v_pk_fma_f16 v64, v96, v107, v102
	;; [unrolled: 1-line block ×4, first 2 shown]
	v_fmac_f32_e32 v75, v106, v6
	v_pk_fma_f16 v6, v93, v107, v63
	v_pk_fma_f16 v63, v95, v107, v101
	;; [unrolled: 1-line block ×28, first 2 shown]
	s_waitcnt vmcnt(3)
	ds_write_b128 v83, v[55:58]
	s_waitcnt vmcnt(2)
	ds_write_b128 v85, v[8:11]
	;; [unrolled: 2-line block ×4, first 2 shown]
	s_waitcnt lgkmcnt(0)
	s_barrier
	buffer_gl0_inv
	ds_read_b128 v[6:9], v82 offset:96
	ds_read2_b64 v[10:13], v67 offset1:32
	ds_read2_b64 v[31:34], v67 offset0:64 offset1:96
	ds_read2_b64 v[35:38], v67 offset0:128 offset1:160
	ds_read2_b64 v[39:42], v67 offset0:192 offset1:224
	ds_read2_b64 v[43:46], v90 offset1:32
	ds_read2_b64 v[47:50], v90 offset0:64 offset1:96
	ds_read2_b64 v[51:54], v90 offset0:128 offset1:160
	ds_read2_b64 v[55:58], v90 offset0:192 offset1:224
	;; [unrolled: 4-line block ×3, first 2 shown]
	s_waitcnt lgkmcnt(12)
	v_mul_u32_u24_sdwa v14, v6, v89 dst_sel:DWORD dst_unused:UNUSED_PAD src0_sel:WORD_0 src1_sel:DWORD
	v_mul_u32_u24_sdwa v6, v6, v89 dst_sel:DWORD dst_unused:UNUSED_PAD src0_sel:WORD_1 src1_sel:DWORD
	v_mul_u32_u24_sdwa v110, v9, v89 dst_sel:DWORD dst_unused:UNUSED_PAD src0_sel:WORD_0 src1_sel:DWORD
	v_mul_u32_u24_sdwa v9, v9, v89 dst_sel:DWORD dst_unused:UNUSED_PAD src0_sel:WORD_1 src1_sel:DWORD
	s_waitcnt lgkmcnt(11)
	v_pk_fma_f16 v15, v10, v14, v63
	v_pk_fma_f16 v63, v11, v14, v64
	v_pk_fma_f16 v64, v12, v14, v105
	v_pk_fma_f16 v105, v13, v14, v106
	s_waitcnt lgkmcnt(10)
	v_pk_fma_f16 v16, v31, v14, v16
	v_pk_fma_f16 v106, v32, v14, v107
	v_pk_fma_f16 v107, v33, v14, v108
	v_pk_fma_f16 v14, v34, v14, v109
	;; [unrolled: 5-line block ×4, first 2 shown]
	v_mul_u32_u24_sdwa v14, v7, v89 dst_sel:DWORD dst_unused:UNUSED_PAD src0_sel:WORD_0 src1_sel:DWORD
	v_mul_u32_u24_sdwa v108, v7, v89 dst_sel:DWORD dst_unused:UNUSED_PAD src0_sel:WORD_1 src1_sel:DWORD
	ds_read2_b64 v[10:13], v92 offset1:32
	ds_read2_b64 v[31:34], v92 offset0:64 offset1:96
	ds_read2_b64 v[35:38], v92 offset0:128 offset1:160
	s_waitcnt lgkmcnt(10)
	v_pk_fma_f16 v15, v43, v14, v15
	v_pk_fma_f16 v63, v44, v14, v63
	;; [unrolled: 1-line block ×4, first 2 shown]
	ds_read2_b64 v[39:42], v92 offset0:192 offset1:224
	s_waitcnt lgkmcnt(0)
	s_barrier
	buffer_gl0_inv
	global_load_dwordx4 v[43:46], v[4:5], off
	v_pk_fma_f16 v16, v47, v14, v16
	v_pk_fma_f16 v106, v48, v14, v106
	;; [unrolled: 1-line block ×4, first 2 shown]
	s_clause 0x1
	global_load_dwordx4 v[47:50], v[4:5], off offset:512
	global_load_dwordx4 v[4:7], v[2:3], off
	v_pk_fma_f16 v15, v51, v108, v15
	v_pk_fma_f16 v63, v52, v108, v63
	;; [unrolled: 1-line block ×4, first 2 shown]
	global_load_dwordx4 v[51:54], v[2:3], off offset:512
	v_mul_u32_u24_sdwa v109, v8, v89 dst_sel:DWORD dst_unused:UNUSED_PAD src0_sel:WORD_0 src1_sel:DWORD
	v_pk_fma_f16 v2, v55, v108, v16
	v_pk_fma_f16 v3, v56, v108, v106
	;; [unrolled: 1-line block ×4, first 2 shown]
	v_mul_u32_u24_sdwa v8, v8, v89 dst_sel:DWORD dst_unused:UNUSED_PAD src0_sel:WORD_1 src1_sel:DWORD
	v_pk_fma_f16 v15, v59, v109, v15
	v_pk_fma_f16 v55, v60, v109, v63
	;; [unrolled: 1-line block ×32, first 2 shown]
	s_waitcnt vmcnt(3)
	ds_write_b128 v83, v[43:46]
	s_waitcnt vmcnt(2)
	ds_write_b128 v85, v[47:50]
	;; [unrolled: 2-line block ×4, first 2 shown]
	s_waitcnt lgkmcnt(0)
	s_barrier
	buffer_gl0_inv
	ds_read_b128 v[2:5], v82 offset:112
	ds_read2_b64 v[6:9], v67 offset1:32
	ds_read2_b64 v[10:13], v67 offset0:64 offset1:96
	ds_read2_b64 v[31:34], v67 offset0:128 offset1:160
	ds_read2_b64 v[35:38], v67 offset0:192 offset1:224
	ds_read2_b64 v[39:42], v90 offset1:32
	ds_read2_b64 v[43:46], v90 offset0:64 offset1:96
	ds_read2_b64 v[47:50], v90 offset0:128 offset1:160
	ds_read2_b64 v[51:54], v90 offset0:192 offset1:224
	ds_read2_b64 v[55:58], v91 offset1:32
	ds_read2_b64 v[59:62], v91 offset0:64 offset1:96
	ds_read2_b64 v[93:96], v91 offset0:128 offset1:160
	ds_read2_b64 v[97:100], v91 offset0:192 offset1:224
	ds_read2_b64 v[101:104], v92 offset1:32
	s_waitcnt lgkmcnt(13)
	v_mul_u32_u24_sdwa v108, v2, v89 dst_sel:DWORD dst_unused:UNUSED_PAD src0_sel:WORD_0 src1_sel:DWORD
	v_mul_u32_u24_sdwa v2, v2, v89 dst_sel:DWORD dst_unused:UNUSED_PAD src0_sel:WORD_1 src1_sel:DWORD
	s_waitcnt lgkmcnt(12)
	v_pk_fma_f16 v15, v6, v108, v15
	v_pk_fma_f16 v16, v7, v108, v16
	v_pk_fma_f16 v63, v8, v108, v63
	v_pk_fma_f16 v64, v9, v108, v64
	s_waitcnt lgkmcnt(11)
	v_pk_fma_f16 v105, v10, v108, v105
	v_pk_fma_f16 v106, v11, v108, v106
	v_pk_fma_f16 v14, v12, v108, v14
	v_pk_fma_f16 v107, v13, v108, v107
	;; [unrolled: 5-line block ×3, first 2 shown]
	v_mul_u32_u24_sdwa v108, v3, v89 dst_sel:DWORD dst_unused:UNUSED_PAD src0_sel:WORD_0 src1_sel:DWORD
	s_waitcnt lgkmcnt(9)
	v_pk_fma_f16 v35, v35, v2, v105
	v_pk_fma_f16 v36, v36, v2, v106
	;; [unrolled: 1-line block ×4, first 2 shown]
	ds_read2_b64 v[6:9], v92 offset0:64 offset1:96
	v_mul_u32_u24_sdwa v3, v3, v89 dst_sel:DWORD dst_unused:UNUSED_PAD src0_sel:WORD_1 src1_sel:DWORD
	s_waitcnt lgkmcnt(9)
	v_pk_fma_f16 v15, v39, v108, v15
	v_pk_fma_f16 v16, v40, v108, v16
	;; [unrolled: 1-line block ×4, first 2 shown]
	s_waitcnt lgkmcnt(8)
	v_pk_fma_f16 v35, v43, v108, v35
	v_pk_fma_f16 v36, v44, v108, v36
	;; [unrolled: 1-line block ×4, first 2 shown]
	ds_read2_b64 v[10:13], v92 offset0:128 offset1:160
	ds_read2_b64 v[31:34], v92 offset0:192 offset1:224
	s_waitcnt lgkmcnt(0)
	s_barrier
	buffer_gl0_inv
	s_load_dword s0, s[6:7], 0x4
	v_mul_u32_u24_sdwa v37, v4, v89 dst_sel:DWORD dst_unused:UNUSED_PAD src0_sel:WORD_0 src1_sel:DWORD
	v_pk_fma_f16 v15, v47, v3, v15
	v_pk_fma_f16 v16, v48, v3, v16
	;; [unrolled: 1-line block ×8, first 2 shown]
	v_mul_u32_u24_sdwa v4, v4, v89 dst_sel:DWORD dst_unused:UNUSED_PAD src0_sel:WORD_1 src1_sel:DWORD
	v_pk_fma_f16 v3, v55, v37, v15
	v_pk_fma_f16 v15, v56, v37, v16
	;; [unrolled: 1-line block ×8, first 2 shown]
	v_mul_u32_u24_sdwa v38, v5, v89 dst_sel:DWORD dst_unused:UNUSED_PAD src0_sel:WORD_0 src1_sel:DWORD
	v_pk_fma_f16 v3, v93, v4, v3
	v_pk_fma_f16 v15, v94, v4, v15
	;; [unrolled: 1-line block ×8, first 2 shown]
	v_mul_u32_u24_sdwa v5, v5, v89 dst_sel:DWORD dst_unused:UNUSED_PAD src0_sel:WORD_1 src1_sel:DWORD
	v_pk_fma_f16 v3, v101, v38, v3
	v_pk_fma_f16 v4, v102, v38, v15
	;; [unrolled: 1-line block ×8, first 2 shown]
	s_waitcnt lgkmcnt(0)
	s_lshl_b32 s0, s0, 6
	v_pk_fma_f16 v97, v10, v5, v3
	v_pk_fma_f16 v99, v11, v5, v4
	;; [unrolled: 1-line block ×8, first 2 shown]
	s_add_i32 s8, s0, s8
	s_cmp_ge_i32 s8, s30
	s_cbranch_scc0 .LBB20_11
; %bb.12:
	v_mov_b32_e32 v2, 32
	v_mov_b32_e32 v3, v69
.LBB20_13:
	v_cmp_lt_i32_e32 vcc_lo, v74, v2
	s_cmp_lg_u64 s[16:17], 0
	s_cselect_b32 s0, -1, 0
	s_cmp_eq_u32 s28, 0
	v_cndmask_b32_e32 v4, v3, v74, vcc_lo
	v_cmp_lt_i32_e32 vcc_lo, v73, v2
	s_cselect_b32 s1, -1, 0
	s_and_b32 s0, s1, s0
	v_lshlrev_b32_e32 v4, 2, v4
	v_cndmask_b32_e32 v5, v3, v73, vcc_lo
	v_cmp_lt_i32_e32 vcc_lo, v72, v2
	ds_bpermute_b32 v4, v4, v75
	v_lshlrev_b32_e32 v5, 2, v5
	v_cndmask_b32_e32 v6, v3, v72, vcc_lo
	v_cmp_lt_i32_e32 vcc_lo, v71, v2
	v_lshlrev_b32_e32 v6, 2, v6
	s_waitcnt lgkmcnt(0)
	v_add_f32_e32 v4, v75, v4
	ds_bpermute_b32 v5, v5, v4
	s_waitcnt lgkmcnt(0)
	v_add_f32_e32 v4, v4, v5
	ds_bpermute_b32 v5, v6, v4
	v_cndmask_b32_e32 v6, v3, v71, vcc_lo
	v_cmp_lt_i32_e32 vcc_lo, v70, v2
	v_lshlrev_b32_e32 v6, 2, v6
	v_cndmask_b32_e32 v2, v3, v70, vcc_lo
	v_add_nc_u32_e32 v3, s33, v65
	s_and_b32 vcc_lo, exec_lo, s0
	v_lshlrev_b32_e32 v2, 2, v2
	s_waitcnt lgkmcnt(0)
	v_add_f32_e32 v4, v4, v5
	ds_bpermute_b32 v5, v6, v4
	s_waitcnt lgkmcnt(0)
	v_add_f32_e32 v4, v4, v5
	ds_bpermute_b32 v2, v2, v4
	s_waitcnt lgkmcnt(0)
	v_add_f32_e32 v2, v4, v2
	s_cbranch_vccz .LBB20_15
; %bb.14:
	v_ashrrev_i32_e32 v4, 31, v3
	v_lshlrev_b64 v[4:5], 2, v[3:4]
	v_add_co_u32 v4, vcc_lo, s16, v4
	v_add_co_ci_u32_e64 v5, null, s17, v5, vcc_lo
	global_load_dword v4, v[4:5], off
	v_max_f32_e32 v5, v1, v1
	s_waitcnt vmcnt(0)
	v_max_f32_e32 v6, v4, v4
	v_max_f32_e32 v5, v5, v6
	v_sub_f32_e32 v1, v1, v5
	v_sub_f32_e32 v4, v4, v5
	v_mul_f32_e32 v6, 0x3fb8aa3b, v1
	v_mul_f32_e32 v7, 0x3fb8aa3b, v4
	v_cmp_ngt_f32_e32 vcc_lo, 0xc2ce8ed0, v1
	v_fma_f32 v8, 0x3fb8aa3b, v1, -v6
	v_rndne_f32_e32 v9, v6
	v_fma_f32 v10, 0x3fb8aa3b, v4, -v7
	v_rndne_f32_e32 v11, v7
	v_fmac_f32_e32 v8, 0x32a5705f, v1
	v_sub_f32_e32 v6, v6, v9
	v_fmac_f32_e32 v10, 0x32a5705f, v4
	v_sub_f32_e32 v7, v7, v11
	v_add_f32_e32 v6, v6, v8
	v_cvt_i32_f32_e32 v8, v9
	v_add_f32_e32 v7, v7, v10
	v_cvt_i32_f32_e32 v9, v11
	v_exp_f32_e32 v6, v6
	v_exp_f32_e32 v7, v7
	v_ldexp_f32 v6, v6, v8
	v_ldexp_f32 v7, v7, v9
	v_cndmask_b32_e32 v6, 0, v6, vcc_lo
	v_cmp_ngt_f32_e32 vcc_lo, 0xc2ce8ed0, v4
	v_cndmask_b32_e32 v7, 0, v7, vcc_lo
	v_cmp_nlt_f32_e32 vcc_lo, 0x42b17218, v1
	v_cndmask_b32_e32 v1, 0x7f800000, v6, vcc_lo
	v_cmp_nlt_f32_e32 vcc_lo, 0x42b17218, v4
	v_mov_b32_e32 v6, 0x10001
	v_cndmask_b32_e32 v4, 0x7f800000, v7, vcc_lo
	v_cvt_f16_f32_e32 v7, v1
	v_fmac_f32_e32 v4, v2, v1
	v_mul_u32_u24_sdwa v1, v7, v6 dst_sel:DWORD dst_unused:UNUSED_PAD src0_sel:WORD_0 src1_sel:DWORD
	v_mov_b32_e32 v2, v4
	v_pk_mul_f16 v97, v97, v1
	v_pk_mul_f16 v99, v99, v1
	;; [unrolled: 1-line block ×8, first 2 shown]
	v_mov_b32_e32 v1, v5
.LBB20_15:
	v_div_scale_f32 v6, null, v2, v2, 1.0
	s_load_dword s1, s[4:5], 0xd4
	v_mad_u64_u32 v[4:5], null, s29, s26, v[17:18]
	v_rcp_f32_e32 v7, v6
	v_div_scale_f32 v8, vcc_lo, 1.0, v2, 1.0
	v_mov_b32_e32 v17, 0
	v_cvt_f32_f16_e32 v9, v99
	v_cvt_f32_f16_sdwa v18, v98 dst_sel:DWORD dst_unused:UNUSED_PAD src0_sel:WORD_1
	v_mad_u64_u32 v[3:4], null, v4, s27, v[3:4]
	v_cvt_f32_f16_e32 v19, v98
	v_mov_b32_e32 v13, v17
	v_fma_f32 v5, -v6, v7, 1.0
	v_cvt_f32_f16_sdwa v26, v95 dst_sel:DWORD dst_unused:UNUSED_PAD src0_sel:WORD_1
	v_cvt_f32_f16_e32 v27, v95
	v_cmp_eq_u32_e64 s0, 0, v0
	v_cvt_f32_f16_sdwa v0, v99 dst_sel:DWORD dst_unused:UNUSED_PAD src0_sel:WORD_1
	v_fmac_f32_e32 v7, v5, v7
	v_mov_b32_e32 v5, v17
	s_waitcnt lgkmcnt(0)
	v_mad_u64_u32 v[3:4], null, s1, v3, s[28:29]
	s_cmp_lg_u32 s1, 1
	v_mul_f32_e32 v12, v8, v7
	s_cselect_b32 s1, -1, 0
	v_cvt_f32_f16_sdwa v10, v97 dst_sel:DWORD dst_unused:UNUSED_PAD src0_sel:WORD_1
	v_cvt_f32_f16_e32 v15, v100
	v_cvt_f32_f16_sdwa v24, v96 dst_sel:DWORD dst_unused:UNUSED_PAD src0_sel:WORD_1
	v_fma_f32 v4, -v6, v12, v8
	v_lshl_or_b32 v16, v3, 9, v66
	v_cvt_f32_f16_e32 v11, v97
	v_cvt_f32_f16_sdwa v14, v100 dst_sel:DWORD dst_unused:UNUSED_PAD src0_sel:WORD_1
	v_cvt_f32_f16_e32 v25, v96
	v_fmac_f32_e32 v12, v4, v7
	v_add_nc_u32_e32 v4, 0x80, v16
	v_cvt_f32_f16_sdwa v29, v94 dst_sel:DWORD dst_unused:UNUSED_PAD src0_sel:WORD_1
	v_cvt_f32_f16_e32 v30, v94
	s_and_b32 s0, s0, s1
	v_fma_f32 v6, -v6, v12, v8
	v_lshlrev_b64 v[4:5], 2, v[4:5]
	v_div_fmas_f32 v8, v6, v7, v12
	v_lshlrev_b64 v[6:7], 2, v[16:17]
	v_add_nc_u32_e32 v12, 0x100, v16
	v_add_nc_u32_e32 v16, 0x180, v16
	v_div_fixup_f32 v8, v8, v2, 1.0
	v_add_co_u32 v20, vcc_lo, s20, v6
	v_add_co_ci_u32_e64 v21, null, s21, v7, vcc_lo
	v_cndmask_b32_e64 v28, v8, 1.0, s1
	v_add_co_u32 v22, vcc_lo, s20, v4
	v_add_co_ci_u32_e64 v23, null, s21, v5, vcc_lo
	v_mul_f32_e32 v6, v28, v9
	v_mul_f32_e32 v9, v28, v18
	;; [unrolled: 1-line block ×3, first 2 shown]
	v_lshlrev_b64 v[18:19], 2, v[12:13]
	v_mul_f32_e32 v13, v28, v26
	v_mul_f32_e32 v12, v28, v27
	v_lshlrev_b64 v[26:27], 2, v[16:17]
	v_mul_f32_e32 v7, v28, v0
	v_mul_f32_e32 v5, v28, v10
	;; [unrolled: 1-line block ×4, first 2 shown]
	v_add_co_u32 v24, vcc_lo, s20, v18
	v_cvt_f32_f16_sdwa v0, v93 dst_sel:DWORD dst_unused:UNUSED_PAD src0_sel:WORD_1
	v_cvt_f32_f16_e32 v18, v93
	v_mul_f32_e32 v4, v28, v11
	v_mul_f32_e32 v11, v28, v14
	;; [unrolled: 1-line block ×3, first 2 shown]
	v_add_co_ci_u32_e64 v25, null, s21, v19, vcc_lo
	v_add_co_u32 v26, vcc_lo, s20, v26
	v_mul_f32_e32 v19, v28, v0
	v_mul_f32_e32 v18, v28, v18
	;; [unrolled: 1-line block ×4, first 2 shown]
	v_add_co_ci_u32_e64 v27, null, s21, v27, vcc_lo
	global_store_dwordx4 v[20:21], v[4:7], off
	global_store_dwordx4 v[22:23], v[8:11], off
	;; [unrolled: 1-line block ×4, first 2 shown]
	s_and_saveexec_b32 s1, s0
	s_cbranch_execz .LBB20_17
; %bb.16:
	v_ashrrev_i32_e32 v4, 31, v3
	v_lshlrev_b64 v[3:4], 3, v[3:4]
	v_add_co_u32 v3, vcc_lo, s22, v3
	v_add_co_ci_u32_e64 v4, null, s23, v4, vcc_lo
	global_store_dwordx2 v[3:4], v[1:2], off
.LBB20_17:
	s_endpgm
	.section	.rodata,"a",@progbits
	.p2align	6, 0x0
	.amdhsa_kernel _ZL15flash_attn_tileILi576ELi512ELi1ELi4ELb0EEvPKcS1_S1_S1_S1_PKiPfP15HIP_vector_typeIfLj2EEffffjfiS5_IjLj3EEiiiiiiiiiiiliiliiiiil
		.amdhsa_group_segment_fixed_size 14336
		.amdhsa_private_segment_fixed_size 0
		.amdhsa_kernarg_size 464
		.amdhsa_user_sgpr_count 6
		.amdhsa_user_sgpr_private_segment_buffer 1
		.amdhsa_user_sgpr_dispatch_ptr 0
		.amdhsa_user_sgpr_queue_ptr 0
		.amdhsa_user_sgpr_kernarg_segment_ptr 1
		.amdhsa_user_sgpr_dispatch_id 0
		.amdhsa_user_sgpr_flat_scratch_init 0
		.amdhsa_user_sgpr_private_segment_size 0
		.amdhsa_wavefront_size32 1
		.amdhsa_uses_dynamic_stack 0
		.amdhsa_system_sgpr_private_segment_wavefront_offset 0
		.amdhsa_system_sgpr_workgroup_id_x 1
		.amdhsa_system_sgpr_workgroup_id_y 1
		.amdhsa_system_sgpr_workgroup_id_z 1
		.amdhsa_system_sgpr_workgroup_info 0
		.amdhsa_system_vgpr_workitem_id 1
		.amdhsa_next_free_vgpr 115
		.amdhsa_next_free_sgpr 41
		.amdhsa_reserve_vcc 1
		.amdhsa_reserve_flat_scratch 0
		.amdhsa_float_round_mode_32 0
		.amdhsa_float_round_mode_16_64 0
		.amdhsa_float_denorm_mode_32 3
		.amdhsa_float_denorm_mode_16_64 3
		.amdhsa_dx10_clamp 1
		.amdhsa_ieee_mode 1
		.amdhsa_fp16_overflow 0
		.amdhsa_workgroup_processor_mode 1
		.amdhsa_memory_ordered 1
		.amdhsa_forward_progress 1
		.amdhsa_shared_vgpr_count 0
		.amdhsa_exception_fp_ieee_invalid_op 0
		.amdhsa_exception_fp_denorm_src 0
		.amdhsa_exception_fp_ieee_div_zero 0
		.amdhsa_exception_fp_ieee_overflow 0
		.amdhsa_exception_fp_ieee_underflow 0
		.amdhsa_exception_fp_ieee_inexact 0
		.amdhsa_exception_int_div_zero 0
	.end_amdhsa_kernel
	.section	.text._ZL15flash_attn_tileILi576ELi512ELi1ELi4ELb0EEvPKcS1_S1_S1_S1_PKiPfP15HIP_vector_typeIfLj2EEffffjfiS5_IjLj3EEiiiiiiiiiiiliiliiiiil,"axG",@progbits,_ZL15flash_attn_tileILi576ELi512ELi1ELi4ELb0EEvPKcS1_S1_S1_S1_PKiPfP15HIP_vector_typeIfLj2EEffffjfiS5_IjLj3EEiiiiiiiiiiiliiliiiiil,comdat
.Lfunc_end20:
	.size	_ZL15flash_attn_tileILi576ELi512ELi1ELi4ELb0EEvPKcS1_S1_S1_S1_PKiPfP15HIP_vector_typeIfLj2EEffffjfiS5_IjLj3EEiiiiiiiiiiiliiliiiiil, .Lfunc_end20-_ZL15flash_attn_tileILi576ELi512ELi1ELi4ELb0EEvPKcS1_S1_S1_S1_PKiPfP15HIP_vector_typeIfLj2EEffffjfiS5_IjLj3EEiiiiiiiiiiiliiliiiiil
                                        ; -- End function
	.set _ZL15flash_attn_tileILi576ELi512ELi1ELi4ELb0EEvPKcS1_S1_S1_S1_PKiPfP15HIP_vector_typeIfLj2EEffffjfiS5_IjLj3EEiiiiiiiiiiiliiliiiiil.num_vgpr, 115
	.set _ZL15flash_attn_tileILi576ELi512ELi1ELi4ELb0EEvPKcS1_S1_S1_S1_PKiPfP15HIP_vector_typeIfLj2EEffffjfiS5_IjLj3EEiiiiiiiiiiiliiliiiiil.num_agpr, 0
	.set _ZL15flash_attn_tileILi576ELi512ELi1ELi4ELb0EEvPKcS1_S1_S1_S1_PKiPfP15HIP_vector_typeIfLj2EEffffjfiS5_IjLj3EEiiiiiiiiiiiliiliiiiil.numbered_sgpr, 41
	.set _ZL15flash_attn_tileILi576ELi512ELi1ELi4ELb0EEvPKcS1_S1_S1_S1_PKiPfP15HIP_vector_typeIfLj2EEffffjfiS5_IjLj3EEiiiiiiiiiiiliiliiiiil.num_named_barrier, 0
	.set _ZL15flash_attn_tileILi576ELi512ELi1ELi4ELb0EEvPKcS1_S1_S1_S1_PKiPfP15HIP_vector_typeIfLj2EEffffjfiS5_IjLj3EEiiiiiiiiiiiliiliiiiil.private_seg_size, 0
	.set _ZL15flash_attn_tileILi576ELi512ELi1ELi4ELb0EEvPKcS1_S1_S1_S1_PKiPfP15HIP_vector_typeIfLj2EEffffjfiS5_IjLj3EEiiiiiiiiiiiliiliiiiil.uses_vcc, 1
	.set _ZL15flash_attn_tileILi576ELi512ELi1ELi4ELb0EEvPKcS1_S1_S1_S1_PKiPfP15HIP_vector_typeIfLj2EEffffjfiS5_IjLj3EEiiiiiiiiiiiliiliiiiil.uses_flat_scratch, 0
	.set _ZL15flash_attn_tileILi576ELi512ELi1ELi4ELb0EEvPKcS1_S1_S1_S1_PKiPfP15HIP_vector_typeIfLj2EEffffjfiS5_IjLj3EEiiiiiiiiiiiliiliiiiil.has_dyn_sized_stack, 0
	.set _ZL15flash_attn_tileILi576ELi512ELi1ELi4ELb0EEvPKcS1_S1_S1_S1_PKiPfP15HIP_vector_typeIfLj2EEffffjfiS5_IjLj3EEiiiiiiiiiiiliiliiiiil.has_recursion, 0
	.set _ZL15flash_attn_tileILi576ELi512ELi1ELi4ELb0EEvPKcS1_S1_S1_S1_PKiPfP15HIP_vector_typeIfLj2EEffffjfiS5_IjLj3EEiiiiiiiiiiiliiliiiiil.has_indirect_call, 0
	.section	.AMDGPU.csdata,"",@progbits
; Kernel info:
; codeLenInByte = 26272
; TotalNumSgprs: 43
; NumVgprs: 115
; ScratchSize: 0
; MemoryBound: 0
; FloatMode: 240
; IeeeMode: 1
; LDSByteSize: 14336 bytes/workgroup (compile time only)
; SGPRBlocks: 0
; VGPRBlocks: 14
; NumSGPRsForWavesPerEU: 43
; NumVGPRsForWavesPerEU: 115
; Occupancy: 8
; WaveLimiterHint : 1
; COMPUTE_PGM_RSRC2:SCRATCH_EN: 0
; COMPUTE_PGM_RSRC2:USER_SGPR: 6
; COMPUTE_PGM_RSRC2:TRAP_HANDLER: 0
; COMPUTE_PGM_RSRC2:TGID_X_EN: 1
; COMPUTE_PGM_RSRC2:TGID_Y_EN: 1
; COMPUTE_PGM_RSRC2:TGID_Z_EN: 1
; COMPUTE_PGM_RSRC2:TIDIG_COMP_CNT: 1
	.section	.text._ZL33flash_attn_stream_k_fixup_uniformILi512ELi1ELi4EEvPfPK15HIP_vector_typeIfLj2EEiiiiiiS1_IjLj3EES5_S5_,"axG",@progbits,_ZL33flash_attn_stream_k_fixup_uniformILi512ELi1ELi4EEvPfPK15HIP_vector_typeIfLj2EEiiiiiiS1_IjLj3EES5_S5_,comdat
	.globl	_ZL33flash_attn_stream_k_fixup_uniformILi512ELi1ELi4EEvPfPK15HIP_vector_typeIfLj2EEiiiiiiS1_IjLj3EES5_S5_ ; -- Begin function _ZL33flash_attn_stream_k_fixup_uniformILi512ELi1ELi4EEvPfPK15HIP_vector_typeIfLj2EEiiiiiiS1_IjLj3EES5_S5_
	.p2align	8
	.type	_ZL33flash_attn_stream_k_fixup_uniformILi512ELi1ELi4EEvPfPK15HIP_vector_typeIfLj2EEiiiiiiS1_IjLj3EES5_S5_,@function
_ZL33flash_attn_stream_k_fixup_uniformILi512ELi1ELi4EEvPfPK15HIP_vector_typeIfLj2EEiiiiiiS1_IjLj3EES5_S5_: ; @_ZL33flash_attn_stream_k_fixup_uniformILi512ELi1ELi4EEvPfPK15HIP_vector_typeIfLj2EEiiiiiiS1_IjLj3EES5_S5_
; %bb.0:
	s_clause 0x1
	s_load_dwordx8 s[12:19], s[4:5], 0x1c
	s_load_dwordx4 s[0:3], s[4:5], 0x3c
	s_waitcnt lgkmcnt(0)
	s_mul_hi_u32 s9, s15, s6
	s_add_i32 s9, s6, s9
	s_lshr_b32 s9, s9, s16
	s_mul_i32 s10, s9, s17
	s_sub_i32 s16, s6, s10
	s_load_dwordx2 s[10:11], s[4:5], 0x10
	s_mul_hi_u32 s15, s16, s18
	s_add_i32 s15, s16, s15
	s_lshr_b32 s15, s15, s19
	s_mul_i32 s0, s15, s0
	s_sub_i32 s0, s16, s0
	s_mul_hi_u32 s1, s0, s1
	s_add_i32 s1, s0, s1
	s_lshr_b32 s1, s1, s2
	s_mul_i32 s2, s1, s3
	s_lshl_b32 s17, s1, 2
	s_sub_i32 s16, s0, s2
	s_add_i32 s16, s16, s7
	s_waitcnt lgkmcnt(0)
	s_cmp_lt_i32 s16, s10
	s_cselect_b32 s0, -1, 0
	s_add_i32 s17, s17, s8
	s_cmp_lt_i32 s17, s13
	s_cselect_b32 s1, -1, 0
	s_and_b32 s0, s0, s1
	s_andn2_b32 vcc_lo, exec_lo, s0
	s_cbranch_vccnz .LBB21_6
; %bb.1:
	s_mul_i32 s9, s9, s10
	s_load_dwordx4 s[0:3], s[4:5], 0x0
	s_mul_i32 s15, s15, s13
	s_add_i32 s4, s16, s9
	s_add_i32 s5, s17, s15
	s_mul_i32 s4, s4, s11
	s_add_i32 s5, s5, s4
	s_mul_i32 s4, s14, s6
	v_lshl_or_b32 v1, s5, 9, v0
	s_add_i32 s10, s4, s14
	v_ashrrev_i32_e32 v2, 31, v1
	v_lshlrev_b64 v[1:2], 2, v[1:2]
	s_waitcnt lgkmcnt(0)
	v_add_co_u32 v1, vcc_lo, s0, v1
	v_add_co_ci_u32_e64 v2, null, s1, v2, vcc_lo
	s_add_i32 s0, s7, s10
	s_lshl_b32 s0, s0, 2
	global_load_dword v5, v[1:2], off
	s_add_i32 s0, s0, s8
	s_add_i32 s0, s0, -4
	s_ashr_i32 s1, s0, 31
	s_lshl_b64 s[0:1], s[0:1], 3
	s_add_u32 s0, s2, s0
	s_addc_u32 s1, s3, s1
	s_add_i32 s5, s10, -2
	s_load_dword s11, s[0:1], 0x4
	s_cmp_lt_i32 s5, s4
	s_cbranch_scc1 .LBB21_4
; %bb.2:
	s_lshl_b32 s16, s12, 4
	s_load_dword s13, s[0:1], 0x0
	s_ashr_i32 s17, s16, 31
	s_waitcnt lgkmcnt(0)
	v_mov_b32_e32 v6, s11
	s_lshl_b64 s[0:1], s[16:17], 2
	s_add_u32 s5, s2, s0
	s_addc_u32 s9, s3, s1
	s_add_i32 s6, s6, 1
	s_lshl_b32 s0, s8, 9
	s_lshl_b32 s1, s7, 11
	s_mul_i32 s6, s14, s6
	s_add_i32 s0, s0, s1
	s_lshl_b32 s1, s6, 11
	s_add_i32 s6, s10, -1
	s_add_i32 s0, s0, s1
	s_add_i32 s1, s7, s12
	v_or_b32_e32 v0, s0, v0
	s_add_i32 s1, s1, s10
	s_lshl_b32 s0, s1, 2
	v_add_nc_u32_e32 v3, 0xfffff000, v0
	v_mov_b32_e32 v0, s13
	s_add_i32 s0, s8, s0
	s_add_i32 s0, s0, -8
.LBB21_3:                               ; =>This Inner Loop Header: Depth=1
	v_ashrrev_i32_e32 v4, 31, v3
	s_ashr_i32 s1, s0, 31
	s_lshl_b64 s[10:11], s[0:1], 3
	s_add_u32 s10, s2, s10
	v_lshlrev_b64 v[7:8], 2, v[3:4]
	s_addc_u32 s11, s3, s11
	v_add_nc_u32_e32 v3, 0xfffff800, v3
	s_add_i32 s6, s6, -1
	s_add_i32 s0, s0, -4
	s_cmp_le_i32 s6, s4
	v_add_co_u32 v7, vcc_lo, s5, v7
	v_add_co_ci_u32_e64 v8, null, s9, v8, vcc_lo
	s_load_dwordx2 s[10:11], s[10:11], 0x0
	global_load_dword v4, v[7:8], off
	v_max_f32_e32 v7, v0, v0
	s_waitcnt lgkmcnt(0)
	v_max_f32_e64 v8, s10, s10
	v_max_f32_e32 v7, v7, v8
	v_sub_f32_e32 v8, s10, v7
	v_sub_f32_e32 v0, v0, v7
	v_mul_f32_e32 v9, 0x3fb8aa3b, v8
	v_mul_f32_e32 v12, 0x3fb8aa3b, v0
	v_cmp_ngt_f32_e32 vcc_lo, 0xc2ce8ed0, v8
	v_fma_f32 v10, 0x3fb8aa3b, v8, -v9
	v_rndne_f32_e32 v11, v9
	v_fma_f32 v13, 0x3fb8aa3b, v0, -v12
	v_rndne_f32_e32 v14, v12
	v_fmac_f32_e32 v10, 0x32a5705f, v8
	v_sub_f32_e32 v9, v9, v11
	v_fmac_f32_e32 v13, 0x32a5705f, v0
	v_cvt_i32_f32_e32 v11, v11
	v_add_f32_e32 v9, v9, v10
	v_sub_f32_e32 v10, v12, v14
	v_exp_f32_e32 v9, v9
	v_add_f32_e32 v10, v10, v13
	v_exp_f32_e32 v10, v10
	v_ldexp_f32 v9, v9, v11
	v_cvt_i32_f32_e32 v11, v14
	v_cndmask_b32_e32 v9, 0, v9, vcc_lo
	v_cmp_nlt_f32_e32 vcc_lo, 0x42b17218, v8
	v_ldexp_f32 v10, v10, v11
	v_mov_b32_e32 v11, v6
	v_cndmask_b32_e32 v9, 0x7f800000, v9, vcc_lo
	v_cmp_ngt_f32_e32 vcc_lo, 0xc2ce8ed0, v0
	v_cndmask_b32_e32 v10, 0, v10, vcc_lo
	v_cmp_le_f32_e32 vcc_lo, 0xc1a00000, v8
	v_cndmask_b32_e32 v8, 0, v9, vcc_lo
	v_cmp_nlt_f32_e32 vcc_lo, 0x42b17218, v0
	s_waitcnt vmcnt(1)
	v_mov_b32_e32 v9, v5
	v_cndmask_b32_e32 v5, 0x7f800000, v10, vcc_lo
	v_mul_f32_e32 v10, s11, v8
	v_cmp_le_f32_e32 vcc_lo, 0xc1a00000, v0
	v_mov_b32_e32 v0, v7
	v_mov_b32_e32 v6, v10
	v_cndmask_b32_e32 v12, 0, v5, vcc_lo
	v_fmac_f32_e32 v6, v11, v12
	s_waitcnt vmcnt(0)
	v_mul_f32_e32 v5, v4, v8
	v_fmac_f32_e32 v5, v9, v12
	s_cbranch_scc0 .LBB21_3
	s_branch .LBB21_5
.LBB21_4:
	s_waitcnt lgkmcnt(0)
	v_mov_b32_e32 v6, s11
.LBB21_5:
	s_waitcnt vmcnt(0)
	v_div_scale_f32 v0, null, v6, v6, v5
	v_rcp_f32_e32 v3, v0
	v_fma_f32 v4, -v0, v3, 1.0
	v_fmac_f32_e32 v3, v4, v3
	v_div_scale_f32 v4, vcc_lo, v5, v6, v5
	v_mul_f32_e32 v7, v4, v3
	v_fma_f32 v8, -v0, v7, v4
	v_fmac_f32_e32 v7, v8, v3
	v_fma_f32 v0, -v0, v7, v4
	v_div_fmas_f32 v0, v0, v3, v7
	v_div_fixup_f32 v0, v0, v6, v5
	global_store_dword v[1:2], v0, off
.LBB21_6:
	s_endpgm
	.section	.rodata,"a",@progbits
	.p2align	6, 0x0
	.amdhsa_kernel _ZL33flash_attn_stream_k_fixup_uniformILi512ELi1ELi4EEvPfPK15HIP_vector_typeIfLj2EEiiiiiiS1_IjLj3EES5_S5_
		.amdhsa_group_segment_fixed_size 0
		.amdhsa_private_segment_fixed_size 0
		.amdhsa_kernarg_size 76
		.amdhsa_user_sgpr_count 6
		.amdhsa_user_sgpr_private_segment_buffer 1
		.amdhsa_user_sgpr_dispatch_ptr 0
		.amdhsa_user_sgpr_queue_ptr 0
		.amdhsa_user_sgpr_kernarg_segment_ptr 1
		.amdhsa_user_sgpr_dispatch_id 0
		.amdhsa_user_sgpr_flat_scratch_init 0
		.amdhsa_user_sgpr_private_segment_size 0
		.amdhsa_wavefront_size32 1
		.amdhsa_uses_dynamic_stack 0
		.amdhsa_system_sgpr_private_segment_wavefront_offset 0
		.amdhsa_system_sgpr_workgroup_id_x 1
		.amdhsa_system_sgpr_workgroup_id_y 1
		.amdhsa_system_sgpr_workgroup_id_z 1
		.amdhsa_system_sgpr_workgroup_info 0
		.amdhsa_system_vgpr_workitem_id 0
		.amdhsa_next_free_vgpr 15
		.amdhsa_next_free_sgpr 20
		.amdhsa_reserve_vcc 1
		.amdhsa_reserve_flat_scratch 0
		.amdhsa_float_round_mode_32 0
		.amdhsa_float_round_mode_16_64 0
		.amdhsa_float_denorm_mode_32 3
		.amdhsa_float_denorm_mode_16_64 3
		.amdhsa_dx10_clamp 1
		.amdhsa_ieee_mode 1
		.amdhsa_fp16_overflow 0
		.amdhsa_workgroup_processor_mode 1
		.amdhsa_memory_ordered 1
		.amdhsa_forward_progress 1
		.amdhsa_shared_vgpr_count 0
		.amdhsa_exception_fp_ieee_invalid_op 0
		.amdhsa_exception_fp_denorm_src 0
		.amdhsa_exception_fp_ieee_div_zero 0
		.amdhsa_exception_fp_ieee_overflow 0
		.amdhsa_exception_fp_ieee_underflow 0
		.amdhsa_exception_fp_ieee_inexact 0
		.amdhsa_exception_int_div_zero 0
	.end_amdhsa_kernel
	.section	.text._ZL33flash_attn_stream_k_fixup_uniformILi512ELi1ELi4EEvPfPK15HIP_vector_typeIfLj2EEiiiiiiS1_IjLj3EES5_S5_,"axG",@progbits,_ZL33flash_attn_stream_k_fixup_uniformILi512ELi1ELi4EEvPfPK15HIP_vector_typeIfLj2EEiiiiiiS1_IjLj3EES5_S5_,comdat
.Lfunc_end21:
	.size	_ZL33flash_attn_stream_k_fixup_uniformILi512ELi1ELi4EEvPfPK15HIP_vector_typeIfLj2EEiiiiiiS1_IjLj3EES5_S5_, .Lfunc_end21-_ZL33flash_attn_stream_k_fixup_uniformILi512ELi1ELi4EEvPfPK15HIP_vector_typeIfLj2EEiiiiiiS1_IjLj3EES5_S5_
                                        ; -- End function
	.set _ZL33flash_attn_stream_k_fixup_uniformILi512ELi1ELi4EEvPfPK15HIP_vector_typeIfLj2EEiiiiiiS1_IjLj3EES5_S5_.num_vgpr, 15
	.set _ZL33flash_attn_stream_k_fixup_uniformILi512ELi1ELi4EEvPfPK15HIP_vector_typeIfLj2EEiiiiiiS1_IjLj3EES5_S5_.num_agpr, 0
	.set _ZL33flash_attn_stream_k_fixup_uniformILi512ELi1ELi4EEvPfPK15HIP_vector_typeIfLj2EEiiiiiiS1_IjLj3EES5_S5_.numbered_sgpr, 20
	.set _ZL33flash_attn_stream_k_fixup_uniformILi512ELi1ELi4EEvPfPK15HIP_vector_typeIfLj2EEiiiiiiS1_IjLj3EES5_S5_.num_named_barrier, 0
	.set _ZL33flash_attn_stream_k_fixup_uniformILi512ELi1ELi4EEvPfPK15HIP_vector_typeIfLj2EEiiiiiiS1_IjLj3EES5_S5_.private_seg_size, 0
	.set _ZL33flash_attn_stream_k_fixup_uniformILi512ELi1ELi4EEvPfPK15HIP_vector_typeIfLj2EEiiiiiiS1_IjLj3EES5_S5_.uses_vcc, 1
	.set _ZL33flash_attn_stream_k_fixup_uniformILi512ELi1ELi4EEvPfPK15HIP_vector_typeIfLj2EEiiiiiiS1_IjLj3EES5_S5_.uses_flat_scratch, 0
	.set _ZL33flash_attn_stream_k_fixup_uniformILi512ELi1ELi4EEvPfPK15HIP_vector_typeIfLj2EEiiiiiiS1_IjLj3EES5_S5_.has_dyn_sized_stack, 0
	.set _ZL33flash_attn_stream_k_fixup_uniformILi512ELi1ELi4EEvPfPK15HIP_vector_typeIfLj2EEiiiiiiS1_IjLj3EES5_S5_.has_recursion, 0
	.set _ZL33flash_attn_stream_k_fixup_uniformILi512ELi1ELi4EEvPfPK15HIP_vector_typeIfLj2EEiiiiiiS1_IjLj3EES5_S5_.has_indirect_call, 0
	.section	.AMDGPU.csdata,"",@progbits
; Kernel info:
; codeLenInByte = 824
; TotalNumSgprs: 22
; NumVgprs: 15
; ScratchSize: 0
; MemoryBound: 0
; FloatMode: 240
; IeeeMode: 1
; LDSByteSize: 0 bytes/workgroup (compile time only)
; SGPRBlocks: 0
; VGPRBlocks: 1
; NumSGPRsForWavesPerEU: 22
; NumVGPRsForWavesPerEU: 15
; Occupancy: 16
; WaveLimiterHint : 0
; COMPUTE_PGM_RSRC2:SCRATCH_EN: 0
; COMPUTE_PGM_RSRC2:USER_SGPR: 6
; COMPUTE_PGM_RSRC2:TRAP_HANDLER: 0
; COMPUTE_PGM_RSRC2:TGID_X_EN: 1
; COMPUTE_PGM_RSRC2:TGID_Y_EN: 1
; COMPUTE_PGM_RSRC2:TGID_Z_EN: 1
; COMPUTE_PGM_RSRC2:TIDIG_COMP_CNT: 0
	.section	.text._ZL33flash_attn_stream_k_fixup_generalILi512ELi1ELi4EEvPfPK15HIP_vector_typeIfLj2EEiiiiS1_IjLj3EES5_S5_S5_,"axG",@progbits,_ZL33flash_attn_stream_k_fixup_generalILi512ELi1ELi4EEvPfPK15HIP_vector_typeIfLj2EEiiiiS1_IjLj3EES5_S5_S5_,comdat
	.globl	_ZL33flash_attn_stream_k_fixup_generalILi512ELi1ELi4EEvPfPK15HIP_vector_typeIfLj2EEiiiiS1_IjLj3EES5_S5_S5_ ; -- Begin function _ZL33flash_attn_stream_k_fixup_generalILi512ELi1ELi4EEvPfPK15HIP_vector_typeIfLj2EEiiiiS1_IjLj3EES5_S5_S5_
	.p2align	8
	.type	_ZL33flash_attn_stream_k_fixup_generalILi512ELi1ELi4EEvPfPK15HIP_vector_typeIfLj2EEiiiiS1_IjLj3EES5_S5_S5_,@function
_ZL33flash_attn_stream_k_fixup_generalILi512ELi1ELi4EEvPfPK15HIP_vector_typeIfLj2EEiiiiS1_IjLj3EES5_S5_S5_: ; @_ZL33flash_attn_stream_k_fixup_generalILi512ELi1ELi4EEvPfPK15HIP_vector_typeIfLj2EEiiiiS1_IjLj3EES5_S5_S5_
; %bb.0:
	s_clause 0x1
	s_load_dwordx4 s[0:3], s[4:5], 0x10
	s_load_dword s9, s[4:5], 0x50
	s_mov_b32 s16, 0
	s_waitcnt lgkmcnt(0)
	s_mul_hi_i32 s17, s3, s6
	s_mul_i32 s18, s3, s6
	s_cmp_lg_u64 s[16:17], 0
	s_cbranch_scc0 .LBB22_21
; %bb.1:
	s_add_u32 s10, s9, 0
	s_addc_u32 s11, 0, 0
	s_xor_b64 s[10:11], s[10:11], 0
	v_cvt_f32_u32_e32 v1, s10
	v_cvt_f32_u32_e32 v2, s11
	s_sub_u32 s14, 0, s10
	s_subb_u32 s15, 0, s11
	v_fmamk_f32 v1, v2, 0x4f800000, v1
	v_rcp_f32_e32 v1, v1
	v_mul_f32_e32 v1, 0x5f7ffffc, v1
	v_mul_f32_e32 v2, 0x2f800000, v1
	v_trunc_f32_e32 v2, v2
	v_fmamk_f32 v1, v2, 0xcf800000, v1
	v_cvt_u32_f32_e32 v2, v2
	v_cvt_u32_f32_e32 v1, v1
	v_readfirstlane_b32 s12, v2
	v_readfirstlane_b32 s13, v1
	s_mul_i32 s19, s14, s12
	s_mul_hi_u32 s21, s14, s13
	s_mul_i32 s20, s15, s13
	s_add_i32 s19, s21, s19
	s_mul_i32 s22, s14, s13
	s_add_i32 s19, s19, s20
	s_mul_hi_u32 s21, s13, s22
	s_mul_i32 s24, s13, s19
	s_mul_hi_u32 s23, s12, s22
	s_mul_i32 s20, s12, s22
	s_mul_hi_u32 s22, s13, s19
	s_add_u32 s21, s21, s24
	s_addc_u32 s22, 0, s22
	s_mul_hi_u32 s25, s12, s19
	s_add_u32 s20, s21, s20
	s_mul_i32 s19, s12, s19
	s_addc_u32 s20, s22, s23
	s_addc_u32 s21, s25, 0
	s_add_u32 s19, s20, s19
	s_addc_u32 s20, 0, s21
	s_add_u32 s13, s13, s19
	s_cselect_b32 s19, -1, 0
	s_mul_hi_u32 s21, s14, s13
	s_cmp_lg_u32 s19, 0
	s_mul_i32 s19, s14, s13
	s_addc_u32 s12, s12, s20
	s_mul_i32 s15, s15, s13
	s_mul_i32 s14, s14, s12
	s_mul_hi_u32 s20, s13, s19
	s_add_i32 s14, s21, s14
	s_mul_hi_u32 s21, s12, s19
	s_add_i32 s14, s14, s15
	s_mul_i32 s15, s12, s19
	s_mul_i32 s23, s13, s14
	s_mul_hi_u32 s22, s13, s14
	s_add_u32 s20, s20, s23
	s_addc_u32 s22, 0, s22
	s_mul_hi_u32 s19, s12, s14
	s_add_u32 s15, s20, s15
	s_mul_i32 s14, s12, s14
	s_addc_u32 s15, s22, s21
	s_addc_u32 s19, s19, 0
	s_add_u32 s14, s15, s14
	s_addc_u32 s15, 0, s19
	s_add_u32 s19, s13, s14
	s_cselect_b32 s13, -1, 0
	s_cmp_lg_u32 s13, 0
	s_addc_u32 s20, s12, s15
	s_ashr_i32 s12, s17, 31
	s_add_u32 s14, s18, s12
	s_mov_b32 s13, s12
	s_addc_u32 s15, s17, s12
	s_xor_b64 s[14:15], s[14:15], s[12:13]
	s_mul_i32 s21, s14, s20
	s_mul_hi_u32 s22, s14, s19
	s_mul_hi_u32 s17, s14, s20
	;; [unrolled: 1-line block ×3, first 2 shown]
	s_mul_i32 s19, s15, s19
	s_add_u32 s21, s22, s21
	s_addc_u32 s17, 0, s17
	s_mul_hi_u32 s23, s15, s20
	s_add_u32 s19, s21, s19
	s_mul_i32 s20, s15, s20
	s_addc_u32 s17, s17, s24
	s_addc_u32 s19, s23, 0
	s_add_u32 s17, s17, s20
	s_addc_u32 s19, 0, s19
	s_mul_hi_u32 s20, s10, s17
	s_mul_i32 s21, s10, s19
	s_mul_i32 s22, s11, s17
	s_add_i32 s20, s20, s21
	s_mul_i32 s21, s10, s17
	s_add_i32 s20, s20, s22
	s_sub_i32 s22, s15, s20
	s_sub_u32 s14, s14, s21
	s_cselect_b32 s21, -1, 0
	s_cmp_lg_u32 s21, 0
	s_subb_u32 s22, s22, s11
	s_sub_u32 s23, s14, s10
	s_cselect_b32 s24, -1, 0
	s_cmp_lg_u32 s24, 0
	s_subb_u32 s22, s22, 0
	s_cmp_ge_u32 s22, s11
	s_cselect_b32 s24, -1, 0
	s_cmp_ge_u32 s23, s10
	s_cselect_b32 s23, -1, 0
	s_cmp_eq_u32 s22, s11
	s_cselect_b32 s22, s23, s24
	s_add_u32 s23, s17, 1
	s_addc_u32 s24, s19, 0
	s_add_u32 s25, s17, 2
	s_addc_u32 s26, s19, 0
	s_cmp_lg_u32 s22, 0
	s_cselect_b32 s22, s25, s23
	s_cselect_b32 s23, s26, s24
	s_cmp_lg_u32 s21, 0
	s_subb_u32 s15, s15, s20
	s_cmp_ge_u32 s15, s11
	s_cselect_b32 s20, -1, 0
	s_cmp_ge_u32 s14, s10
	s_cselect_b32 s10, -1, 0
	s_cmp_eq_u32 s15, s11
	s_cselect_b32 s10, s10, s20
	s_cmp_lg_u32 s10, 0
	s_cselect_b32 s11, s23, s19
	s_cselect_b32 s10, s22, s17
	s_xor_b64 s[12:13], s[12:13], 0
	s_xor_b64 s[10:11], s[10:11], s[12:13]
	s_sub_u32 s10, s10, s12
	s_load_dwordx4 s[12:15], s[4:5], 0x44
	s_andn2_b32 vcc_lo, exec_lo, s16
	s_cbranch_vccnz .LBB22_3
.LBB22_2:
	v_cvt_f32_u32_e32 v1, s9
	s_sub_i32 s11, 0, s9
	v_rcp_iflag_f32_e32 v1, v1
	v_mul_f32_e32 v1, 0x4f7ffffe, v1
	v_cvt_u32_f32_e32 v1, v1
	v_readfirstlane_b32 s10, v1
	s_mul_i32 s11, s11, s10
	s_mul_hi_u32 s11, s10, s11
	s_add_i32 s10, s10, s11
	s_mul_hi_u32 s10, s18, s10
	s_mul_i32 s11, s10, s9
	s_waitcnt lgkmcnt(0)
	s_add_i32 s15, s10, 1
	s_sub_i32 s11, s18, s11
	s_sub_i32 s16, s11, s9
	s_cmp_ge_u32 s11, s9
	s_cselect_b32 s10, s15, s10
	s_cselect_b32 s11, s16, s11
	s_add_i32 s15, s10, 1
	s_cmp_ge_u32 s11, s9
	s_cselect_b32 s10, s15, s10
.LBB22_3:
	s_add_i32 s11, s6, 1
	s_mov_b32 s16, 0
	s_mul_hi_i32 s17, s3, s11
	s_mul_i32 s11, s3, s11
	s_cmp_lg_u64 s[16:17], 0
	s_cbranch_scc0 .LBB22_22
; %bb.4:
	s_add_u32 s18, s9, 0
	s_addc_u32 s19, 0, 0
	s_xor_b64 s[18:19], s[18:19], 0
	v_cvt_f32_u32_e32 v1, s18
	v_cvt_f32_u32_e32 v2, s19
	s_sub_u32 s21, 0, s18
	s_subb_u32 s22, 0, s19
	v_fmamk_f32 v1, v2, 0x4f800000, v1
	v_rcp_f32_e32 v1, v1
	v_mul_f32_e32 v1, 0x5f7ffffc, v1
	v_mul_f32_e32 v2, 0x2f800000, v1
	v_trunc_f32_e32 v2, v2
	v_fmamk_f32 v1, v2, 0xcf800000, v1
	v_cvt_u32_f32_e32 v2, v2
	v_cvt_u32_f32_e32 v1, v1
	s_waitcnt lgkmcnt(0)
	v_readfirstlane_b32 s15, v2
	v_readfirstlane_b32 s20, v1
	s_mul_i32 s23, s21, s15
	s_mul_hi_u32 s25, s21, s20
	s_mul_i32 s24, s22, s20
	s_add_i32 s23, s25, s23
	s_mul_i32 s26, s21, s20
	s_add_i32 s23, s23, s24
	s_mul_hi_u32 s25, s20, s26
	s_mul_i32 s28, s20, s23
	s_mul_hi_u32 s27, s15, s26
	s_mul_i32 s24, s15, s26
	s_mul_hi_u32 s26, s20, s23
	s_add_u32 s25, s25, s28
	s_addc_u32 s26, 0, s26
	s_mul_hi_u32 s29, s15, s23
	s_add_u32 s24, s25, s24
	s_mul_i32 s23, s15, s23
	s_addc_u32 s24, s26, s27
	s_addc_u32 s25, s29, 0
	s_add_u32 s23, s24, s23
	s_addc_u32 s24, 0, s25
	s_add_u32 s20, s20, s23
	s_cselect_b32 s23, -1, 0
	s_mul_hi_u32 s25, s21, s20
	s_cmp_lg_u32 s23, 0
	s_mul_i32 s23, s21, s20
	s_addc_u32 s15, s15, s24
	s_mul_i32 s22, s22, s20
	s_mul_i32 s21, s21, s15
	s_mul_hi_u32 s24, s20, s23
	s_add_i32 s21, s25, s21
	s_mul_hi_u32 s25, s15, s23
	s_add_i32 s21, s21, s22
	s_mul_i32 s22, s15, s23
	s_mul_i32 s27, s20, s21
	s_mul_hi_u32 s26, s20, s21
	s_add_u32 s24, s24, s27
	s_addc_u32 s26, 0, s26
	s_mul_hi_u32 s23, s15, s21
	s_add_u32 s22, s24, s22
	s_mul_i32 s21, s15, s21
	s_addc_u32 s22, s26, s25
	s_addc_u32 s23, s23, 0
	s_add_u32 s21, s22, s21
	s_addc_u32 s22, 0, s23
	s_add_u32 s24, s20, s21
	s_cselect_b32 s20, -1, 0
	s_cmp_lg_u32 s20, 0
	s_addc_u32 s15, s15, s22
	s_ashr_i32 s20, s17, 31
	s_add_u32 s22, s11, s20
	s_mov_b32 s21, s20
	s_addc_u32 s23, s17, s20
	s_xor_b64 s[22:23], s[22:23], s[20:21]
	s_mul_i32 s25, s22, s15
	s_mul_hi_u32 s26, s22, s24
	s_mul_hi_u32 s17, s22, s15
	;; [unrolled: 1-line block ×3, first 2 shown]
	s_mul_i32 s24, s23, s24
	s_add_u32 s25, s26, s25
	s_addc_u32 s17, 0, s17
	s_mul_hi_u32 s27, s23, s15
	s_add_u32 s24, s25, s24
	s_mul_i32 s15, s23, s15
	s_addc_u32 s17, s17, s28
	s_addc_u32 s24, s27, 0
	s_add_u32 s15, s17, s15
	s_addc_u32 s17, 0, s24
	s_mul_hi_u32 s24, s18, s15
	s_mul_i32 s25, s18, s17
	s_mul_i32 s26, s19, s15
	s_add_i32 s24, s24, s25
	s_mul_i32 s25, s18, s15
	s_add_i32 s24, s24, s26
	s_sub_i32 s26, s23, s24
	s_sub_u32 s22, s22, s25
	s_cselect_b32 s25, -1, 0
	s_cmp_lg_u32 s25, 0
	s_subb_u32 s26, s26, s19
	s_sub_u32 s27, s22, s18
	s_cselect_b32 s28, -1, 0
	s_cmp_lg_u32 s28, 0
	s_subb_u32 s26, s26, 0
	s_cmp_ge_u32 s26, s19
	s_cselect_b32 s28, -1, 0
	s_cmp_ge_u32 s27, s18
	s_cselect_b32 s27, -1, 0
	s_cmp_eq_u32 s26, s19
	s_cselect_b32 s26, s27, s28
	s_add_u32 s27, s15, 1
	s_addc_u32 s28, s17, 0
	s_add_u32 s29, s15, 2
	s_addc_u32 s30, s17, 0
	s_cmp_lg_u32 s26, 0
	s_cselect_b32 s26, s29, s27
	s_cselect_b32 s27, s30, s28
	s_cmp_lg_u32 s25, 0
	s_subb_u32 s23, s23, s24
	s_cmp_ge_u32 s23, s19
	s_cselect_b32 s24, -1, 0
	s_cmp_ge_u32 s22, s18
	s_cselect_b32 s18, -1, 0
	s_cmp_eq_u32 s23, s19
	s_cselect_b32 s18, s18, s24
	s_cmp_lg_u32 s18, 0
	s_cselect_b32 s19, s27, s17
	s_cselect_b32 s18, s26, s15
	s_xor_b64 s[20:21], s[20:21], 0
	s_xor_b64 s[18:19], s[18:19], s[20:21]
	s_sub_u32 s18, s18, s20
	s_andn2_b32 vcc_lo, exec_lo, s16
	s_cbranch_vccnz .LBB22_6
.LBB22_5:
	v_cvt_f32_u32_e32 v1, s9
	s_sub_i32 s16, 0, s9
	v_rcp_iflag_f32_e32 v1, v1
	v_mul_f32_e32 v1, 0x4f7ffffe, v1
	v_cvt_u32_f32_e32 v1, v1
	s_waitcnt lgkmcnt(0)
	v_readfirstlane_b32 s15, v1
	s_mul_i32 s16, s16, s15
	s_mul_hi_u32 s16, s15, s16
	s_add_i32 s15, s15, s16
	s_mul_hi_u32 s15, s11, s15
	s_mul_i32 s16, s15, s9
	s_sub_i32 s11, s11, s16
	s_add_i32 s16, s15, 1
	s_sub_i32 s17, s11, s9
	s_cmp_ge_u32 s11, s9
	s_cselect_b32 s15, s16, s15
	s_cselect_b32 s11, s17, s11
	s_add_i32 s16, s15, 1
	s_cmp_ge_u32 s11, s9
	s_cselect_b32 s18, s16, s15
.LBB22_6:
	s_cmp_eq_u32 s10, s18
	s_waitcnt lgkmcnt(0)
	s_mul_hi_u32 s11, s10, s12
	s_cselect_b32 s15, -1, 0
	s_add_i32 s11, s11, s10
	s_lshr_b32 s11, s11, s13
	s_mul_i32 s16, s11, s14
	s_cmp_eq_u32 s16, s10
	s_mul_hi_u32 s16, s18, s12
	s_cselect_b32 s17, -1, 0
	s_add_i32 s16, s16, s18
	s_lshr_b32 s16, s16, s13
	s_cmp_eq_u32 s11, s16
	s_mul_i32 s16, s16, s14
	s_cselect_b32 s19, -1, 0
	s_cmp_lg_u32 s16, s18
	s_cselect_b32 s16, -1, 0
	s_or_b32 s15, s15, s17
	s_and_b32 s16, s19, s16
	s_or_b32 s15, s15, s16
	s_and_b32 vcc_lo, exec_lo, s15
	s_cbranch_vccnz .LBB22_24
; %bb.7:
	s_load_dwordx8 s[16:23], s[4:5], 0x20
	s_waitcnt lgkmcnt(0)
	s_mul_hi_u32 s15, s10, s16
	s_load_dword s16, s[4:5], 0x40
	s_add_i32 s15, s15, s10
	s_lshr_b32 s15, s15, s17
	s_mul_i32 s17, s15, s18
	s_sub_i32 s17, s10, s17
	s_mul_hi_u32 s18, s17, s19
	s_add_i32 s18, s17, s18
	s_lshr_b32 s20, s18, s20
	s_mul_i32 s18, s20, s21
	s_sub_i32 s17, s17, s18
	s_mul_hi_u32 s18, s17, s22
	s_add_i32 s18, s17, s18
	s_lshr_b32 s18, s18, s23
	s_waitcnt lgkmcnt(0)
	s_mul_i32 s16, s18, s16
	s_lshl_b32 s22, s18, 2
	s_sub_i32 s16, s17, s16
	s_mul_hi_u32 s17, s16, s12
	s_add_i32 s16, s16, s17
	s_lshr_b32 s21, s16, s13
	s_add_i32 s21, s21, s7
	s_cmp_lt_i32 s21, s0
	s_cselect_b32 s16, -1, 0
	s_add_i32 s22, s22, s8
	s_cmp_lt_i32 s22, s2
	s_cselect_b32 s17, -1, 0
	s_and_b32 s16, s16, s17
	s_andn2_b32 vcc_lo, exec_lo, s16
	s_cbranch_vccnz .LBB22_24
; %bb.8:
	s_load_dwordx4 s[16:19], s[4:5], 0x0
	s_mov_b32 s4, 0
	s_lshl_b32 s24, s9, 4
	s_mov_b32 s25, s4
	s_mul_i32 s0, s15, s0
	s_lshl_b64 s[24:25], s[24:25], 2
	s_mul_i32 s20, s20, s2
	v_cvt_f32_u32_e32 v4, s9
	v_rcp_iflag_f32_e32 v4, v4
	s_waitcnt lgkmcnt(0)
	s_add_u32 s2, s18, s24
	s_addc_u32 s15, s19, s25
	s_add_i32 s0, s21, s0
	s_add_i32 s5, s22, s20
	s_mul_i32 s0, s0, s1
	v_mul_f32_e32 v4, 0x4f7ffffe, v4
	s_add_i32 s5, s5, s0
	s_add_i32 s0, s7, s6
	v_lshl_or_b32 v1, s5, 9, v0
	s_lshl_b32 s0, s0, 2
	v_lshl_or_b32 v0, s8, 9, v0
	s_add_i32 s0, s0, s8
	v_cvt_u32_f32_e32 v4, v4
	v_ashrrev_i32_e32 v2, 31, v1
	s_ashr_i32 s1, s0, 31
	s_lshl_b64 s[0:1], s[0:1], 3
	v_lshlrev_b64 v[1:2], 2, v[1:2]
	s_add_u32 s0, s18, s0
	s_addc_u32 s1, s19, s1
	s_add_i32 s20, s6, -1
	s_load_dwordx2 s[0:1], s[0:1], 0x0
	s_sub_i32 s6, 0, s9
	v_add_co_u32 v1, vcc_lo, s16, v1
	v_add_co_ci_u32_e64 v2, null, s17, v2, vcc_lo
	global_load_dword v3, v[1:2], off
	s_waitcnt lgkmcnt(0)
	v_mov_b32_e32 v5, s1
	v_mov_b32_e32 v6, s0
.LBB22_9:                               ; =>This Inner Loop Header: Depth=1
	s_mul_hi_i32 s5, s20, s3
	s_mul_i32 s16, s20, s3
	s_cmp_lg_u64 s[4:5], 0
	s_mov_b32 s17, -1
                                        ; implicit-def: $sgpr0_sgpr1
	s_cbranch_scc0 .LBB22_11
; %bb.10:                               ;   in Loop: Header=BB22_9 Depth=1
	s_add_u32 s0, s9, 0
	s_addc_u32 s1, 0, 0
	s_xor_b64 s[0:1], s[0:1], 0
	v_cvt_f32_u32_e32 v7, s0
	v_cvt_f32_u32_e32 v8, s1
	s_sub_u32 s22, 0, s0
	s_subb_u32 s23, 0, s1
	v_fmac_f32_e32 v7, 0x4f800000, v8
	v_rcp_f32_e32 v7, v7
	v_mul_f32_e32 v7, 0x5f7ffffc, v7
	v_mul_f32_e32 v8, 0x2f800000, v7
	v_trunc_f32_e32 v8, v8
	v_fmac_f32_e32 v7, 0xcf800000, v8
	v_cvt_u32_f32_e32 v8, v8
	v_cvt_u32_f32_e32 v7, v7
	v_readfirstlane_b32 s17, v8
	v_readfirstlane_b32 s21, v7
	s_mul_i32 s24, s22, s17
	s_mul_hi_u32 s26, s22, s21
	s_mul_i32 s25, s23, s21
	s_add_i32 s24, s26, s24
	s_mul_i32 s27, s22, s21
	s_add_i32 s24, s24, s25
	s_mul_hi_u32 s26, s21, s27
	s_mul_i32 s29, s21, s24
	s_mul_hi_u32 s28, s17, s27
	s_mul_i32 s25, s17, s27
	s_mul_hi_u32 s27, s21, s24
	s_add_u32 s26, s26, s29
	s_addc_u32 s27, 0, s27
	s_mul_hi_u32 s30, s17, s24
	s_add_u32 s25, s26, s25
	s_mul_i32 s24, s17, s24
	s_addc_u32 s25, s27, s28
	s_addc_u32 s26, s30, 0
	s_add_u32 s24, s25, s24
	s_addc_u32 s25, 0, s26
	s_add_u32 s21, s21, s24
	s_cselect_b32 s24, -1, 0
	s_mul_hi_u32 s26, s22, s21
	s_cmp_lg_u32 s24, 0
	s_mul_i32 s24, s22, s21
	s_addc_u32 s17, s17, s25
	s_mul_i32 s23, s23, s21
	s_mul_i32 s22, s22, s17
	s_mul_hi_u32 s25, s21, s24
	s_add_i32 s22, s26, s22
	s_mul_hi_u32 s26, s17, s24
	s_add_i32 s22, s22, s23
	s_mul_i32 s23, s17, s24
	s_mul_i32 s28, s21, s22
	s_mul_hi_u32 s27, s21, s22
	s_add_u32 s25, s25, s28
	s_addc_u32 s27, 0, s27
	s_mul_hi_u32 s24, s17, s22
	s_add_u32 s23, s25, s23
	s_mul_i32 s22, s17, s22
	s_addc_u32 s23, s27, s26
	s_addc_u32 s24, s24, 0
	s_add_u32 s22, s23, s22
	s_addc_u32 s23, 0, s24
	s_add_u32 s21, s21, s22
	s_cselect_b32 s22, -1, 0
	s_cmp_lg_u32 s22, 0
	s_addc_u32 s17, s17, s23
	s_ashr_i32 s22, s5, 31
	s_add_u32 s24, s16, s22
	s_mov_b32 s23, s22
	s_addc_u32 s25, s5, s22
	s_xor_b64 s[24:25], s[24:25], s[22:23]
	s_mul_i32 s26, s24, s17
	s_mul_hi_u32 s27, s24, s21
	s_mul_hi_u32 s5, s24, s17
	;; [unrolled: 1-line block ×3, first 2 shown]
	s_mul_i32 s21, s25, s21
	s_add_u32 s26, s27, s26
	s_addc_u32 s5, 0, s5
	s_mul_hi_u32 s28, s25, s17
	s_add_u32 s21, s26, s21
	s_mul_i32 s17, s25, s17
	s_addc_u32 s5, s5, s29
	s_addc_u32 s21, s28, 0
	s_add_u32 s5, s5, s17
	s_addc_u32 s17, 0, s21
	s_mul_hi_u32 s21, s0, s5
	s_mul_i32 s26, s0, s17
	s_mul_i32 s27, s1, s5
	s_add_i32 s21, s21, s26
	s_mul_i32 s26, s0, s5
	s_add_i32 s21, s21, s27
	s_sub_i32 s27, s25, s21
	s_sub_u32 s24, s24, s26
	s_cselect_b32 s26, -1, 0
	s_cmp_lg_u32 s26, 0
	s_subb_u32 s27, s27, s1
	s_sub_u32 s28, s24, s0
	s_cselect_b32 s29, -1, 0
	s_cmp_lg_u32 s29, 0
	s_subb_u32 s27, s27, 0
	s_cmp_ge_u32 s27, s1
	s_cselect_b32 s29, -1, 0
	s_cmp_ge_u32 s28, s0
	s_cselect_b32 s28, -1, 0
	s_cmp_eq_u32 s27, s1
	s_cselect_b32 s27, s28, s29
	s_add_u32 s28, s5, 1
	s_addc_u32 s29, s17, 0
	s_add_u32 s30, s5, 2
	s_addc_u32 s31, s17, 0
	s_cmp_lg_u32 s27, 0
	s_cselect_b32 s27, s30, s28
	s_cselect_b32 s28, s31, s29
	s_cmp_lg_u32 s26, 0
	s_subb_u32 s21, s25, s21
	s_cmp_ge_u32 s21, s1
	s_cselect_b32 s25, -1, 0
	s_cmp_ge_u32 s24, s0
	s_cselect_b32 s0, -1, 0
	s_cmp_eq_u32 s21, s1
	s_cselect_b32 s0, s0, s25
	s_cmp_lg_u32 s0, 0
	s_cselect_b32 s1, s28, s17
	s_cselect_b32 s0, s27, s5
	s_xor_b64 s[22:23], s[22:23], 0
	s_mov_b32 s17, 0
	s_xor_b64 s[0:1], s[0:1], s[22:23]
	s_sub_u32 s0, s0, s22
.LBB22_11:                              ;   in Loop: Header=BB22_9 Depth=1
	s_andn2_b32 vcc_lo, exec_lo, s17
	s_cbranch_vccnz .LBB22_13
; %bb.12:                               ;   in Loop: Header=BB22_9 Depth=1
	v_readfirstlane_b32 s0, v4
	s_mul_i32 s1, s6, s0
	s_mul_hi_u32 s1, s0, s1
	s_add_i32 s0, s0, s1
	s_mul_hi_u32 s0, s16, s0
	s_mul_i32 s1, s0, s9
	s_add_i32 s5, s0, 1
	s_sub_i32 s1, s16, s1
	s_sub_i32 s16, s1, s9
	s_cmp_ge_u32 s1, s9
	s_cselect_b32 s0, s5, s0
	s_cselect_b32 s1, s16, s1
	s_add_i32 s5, s0, 1
	s_cmp_ge_u32 s1, s9
	s_cselect_b32 s0, s5, s0
.LBB22_13:                              ;   in Loop: Header=BB22_9 Depth=1
	s_cmp_lg_u32 s10, s0
	s_mov_b32 s16, -1
                                        ; implicit-def: $sgpr5
                                        ; implicit-def: $vgpr8
                                        ; implicit-def: $vgpr7
                                        ; implicit-def: $vgpr9
                                        ; implicit-def: $sgpr1
                                        ; implicit-def: $sgpr21
	s_cbranch_scc0 .LBB22_18
; %bb.14:                               ;   in Loop: Header=BB22_9 Depth=1
	s_add_i32 s22, s20, s7
	s_mov_b32 s17, s4
	s_add_i32 s1, s22, s9
	s_mov_b32 s21, s10
	s_lshl_b32 s1, s1, 2
	s_add_i32 s16, s1, s8
	s_mul_hi_u32 s1, s0, s12
	s_lshl_b64 s[16:17], s[16:17], 3
	s_add_u32 s16, s18, s16
	s_addc_u32 s17, s19, s17
	s_add_i32 s1, s1, s0
	s_lshr_b32 s1, s1, s13
	s_mul_i32 s5, s1, s14
	s_cmp_eq_u32 s5, s0
	s_cselect_b32 s5, -1, 0
	s_cmp_lt_u32 s1, s11
	s_cselect_b32 s1, -1, 0
	s_or_b32 s1, s1, s5
	s_mov_b32 s5, -1
	s_and_b32 vcc_lo, exec_lo, s1
	s_mov_b32 s1, s20
	s_cbranch_vccnz .LBB22_16
; %bb.15:                               ;   in Loop: Header=BB22_9 Depth=1
	s_add_i32 s1, s20, -1
	s_mov_b32 s5, 0
	s_mov_b32 s21, s0
.LBB22_16:                              ;   in Loop: Header=BB22_9 Depth=1
	v_lshl_add_u32 v7, s22, 11, v0
	s_load_dwordx2 s[16:17], s[16:17], 0x0
	v_ashrrev_i32_e32 v8, 31, v7
	v_lshlrev_b64 v[7:8], 2, v[7:8]
	v_add_co_u32 v7, vcc_lo, s2, v7
	v_add_co_ci_u32_e64 v8, null, s15, v8, vcc_lo
	s_waitcnt lgkmcnt(0)
	v_max_f32_e64 v9, s16, s16
	global_load_dword v8, v[7:8], off
	v_max_f32_e32 v7, v6, v6
	v_max_f32_e32 v7, v7, v9
	v_sub_f32_e32 v9, s16, v7
	v_sub_f32_e32 v10, v6, v7
	v_mul_f32_e32 v11, 0x3fb8aa3b, v9
	v_mul_f32_e32 v12, 0x3fb8aa3b, v10
	v_cmp_ngt_f32_e32 vcc_lo, 0xc2ce8ed0, v9
	v_fma_f32 v13, 0x3fb8aa3b, v9, -v11
	v_rndne_f32_e32 v14, v11
	v_fma_f32 v15, 0x3fb8aa3b, v10, -v12
	v_rndne_f32_e32 v16, v12
	v_fmac_f32_e32 v13, 0x32a5705f, v9
	v_sub_f32_e32 v11, v11, v14
	v_fmac_f32_e32 v15, 0x32a5705f, v10
	v_sub_f32_e32 v12, v12, v16
	v_add_f32_e32 v11, v11, v13
	v_cvt_i32_f32_e32 v13, v14
	v_add_f32_e32 v12, v12, v15
	v_cvt_i32_f32_e32 v14, v16
	v_exp_f32_e32 v11, v11
	v_exp_f32_e32 v12, v12
	v_ldexp_f32 v11, v11, v13
	v_ldexp_f32 v12, v12, v14
	v_cndmask_b32_e32 v11, 0, v11, vcc_lo
	v_cmp_ngt_f32_e32 vcc_lo, 0xc2ce8ed0, v10
	v_cndmask_b32_e32 v12, 0, v12, vcc_lo
	v_cmp_nlt_f32_e32 vcc_lo, 0x42b17218, v9
	v_cndmask_b32_e32 v11, 0x7f800000, v11, vcc_lo
	v_cmp_nlt_f32_e32 vcc_lo, 0x42b17218, v10
	v_cndmask_b32_e32 v12, 0x7f800000, v12, vcc_lo
	v_cmp_le_f32_e32 vcc_lo, 0xc1a00000, v9
	v_cndmask_b32_e32 v9, 0, v11, vcc_lo
	v_cmp_le_f32_e32 vcc_lo, 0xc1a00000, v10
	v_cndmask_b32_e32 v10, 0, v12, vcc_lo
	s_waitcnt vmcnt(0)
	v_mul_f32_e32 v8, v8, v9
	v_mul_f32_e32 v9, s17, v9
	v_fmac_f32_e32 v8, v3, v10
	v_fmac_f32_e32 v9, v5, v10
	s_cbranch_execz .LBB22_19
.LBB22_17:                              ;   in Loop: Header=BB22_9 Depth=1
	s_andn2_b32 vcc_lo, exec_lo, s5
	s_cbranch_vccnz .LBB22_20
	s_branch .LBB22_23
.LBB22_18:                              ;   in Loop: Header=BB22_9 Depth=1
	s_andn2_b32 vcc_lo, exec_lo, s16
	s_cbranch_vccnz .LBB22_17
.LBB22_19:                              ;   in Loop: Header=BB22_9 Depth=1
	v_mov_b32_e32 v9, v5
	v_mov_b32_e32 v7, v6
	s_waitcnt vmcnt(0)
	v_mov_b32_e32 v8, v3
	s_add_i32 s1, s20, -1
	s_mov_b32 s21, s10
	s_cbranch_execz .LBB22_23
.LBB22_20:                              ;   in Loop: Header=BB22_9 Depth=1
	v_mov_b32_e32 v5, v9
	v_mov_b32_e32 v6, v7
	s_waitcnt vmcnt(0)
	v_mov_b32_e32 v3, v8
	s_mov_b32 s10, s21
	s_mov_b32 s20, s1
	s_branch .LBB22_9
.LBB22_21:
                                        ; implicit-def: $sgpr10_sgpr11
	s_load_dwordx4 s[12:15], s[4:5], 0x44
	s_branch .LBB22_2
.LBB22_22:
                                        ; implicit-def: $sgpr18_sgpr19
	s_branch .LBB22_5
.LBB22_23:
	v_div_scale_f32 v0, null, v9, v9, v8
	s_waitcnt vmcnt(0)
	v_rcp_f32_e32 v3, v0
	v_fma_f32 v4, -v0, v3, 1.0
	v_fmac_f32_e32 v3, v4, v3
	v_div_scale_f32 v4, vcc_lo, v8, v9, v8
	v_mul_f32_e32 v5, v4, v3
	v_fma_f32 v6, -v0, v5, v4
	v_fmac_f32_e32 v5, v6, v3
	v_fma_f32 v0, -v0, v5, v4
	v_div_fmas_f32 v0, v0, v3, v5
	v_div_fixup_f32 v0, v0, v9, v8
	global_store_dword v[1:2], v0, off
.LBB22_24:
	s_endpgm
	.section	.rodata,"a",@progbits
	.p2align	6, 0x0
	.amdhsa_kernel _ZL33flash_attn_stream_k_fixup_generalILi512ELi1ELi4EEvPfPK15HIP_vector_typeIfLj2EEiiiiS1_IjLj3EES5_S5_S5_
		.amdhsa_group_segment_fixed_size 0
		.amdhsa_private_segment_fixed_size 0
		.amdhsa_kernarg_size 336
		.amdhsa_user_sgpr_count 6
		.amdhsa_user_sgpr_private_segment_buffer 1
		.amdhsa_user_sgpr_dispatch_ptr 0
		.amdhsa_user_sgpr_queue_ptr 0
		.amdhsa_user_sgpr_kernarg_segment_ptr 1
		.amdhsa_user_sgpr_dispatch_id 0
		.amdhsa_user_sgpr_flat_scratch_init 0
		.amdhsa_user_sgpr_private_segment_size 0
		.amdhsa_wavefront_size32 1
		.amdhsa_uses_dynamic_stack 0
		.amdhsa_system_sgpr_private_segment_wavefront_offset 0
		.amdhsa_system_sgpr_workgroup_id_x 1
		.amdhsa_system_sgpr_workgroup_id_y 1
		.amdhsa_system_sgpr_workgroup_id_z 1
		.amdhsa_system_sgpr_workgroup_info 0
		.amdhsa_system_vgpr_workitem_id 0
		.amdhsa_next_free_vgpr 17
		.amdhsa_next_free_sgpr 32
		.amdhsa_reserve_vcc 1
		.amdhsa_reserve_flat_scratch 0
		.amdhsa_float_round_mode_32 0
		.amdhsa_float_round_mode_16_64 0
		.amdhsa_float_denorm_mode_32 3
		.amdhsa_float_denorm_mode_16_64 3
		.amdhsa_dx10_clamp 1
		.amdhsa_ieee_mode 1
		.amdhsa_fp16_overflow 0
		.amdhsa_workgroup_processor_mode 1
		.amdhsa_memory_ordered 1
		.amdhsa_forward_progress 1
		.amdhsa_shared_vgpr_count 0
		.amdhsa_exception_fp_ieee_invalid_op 0
		.amdhsa_exception_fp_denorm_src 0
		.amdhsa_exception_fp_ieee_div_zero 0
		.amdhsa_exception_fp_ieee_overflow 0
		.amdhsa_exception_fp_ieee_underflow 0
		.amdhsa_exception_fp_ieee_inexact 0
		.amdhsa_exception_int_div_zero 0
	.end_amdhsa_kernel
	.section	.text._ZL33flash_attn_stream_k_fixup_generalILi512ELi1ELi4EEvPfPK15HIP_vector_typeIfLj2EEiiiiS1_IjLj3EES5_S5_S5_,"axG",@progbits,_ZL33flash_attn_stream_k_fixup_generalILi512ELi1ELi4EEvPfPK15HIP_vector_typeIfLj2EEiiiiS1_IjLj3EES5_S5_S5_,comdat
.Lfunc_end22:
	.size	_ZL33flash_attn_stream_k_fixup_generalILi512ELi1ELi4EEvPfPK15HIP_vector_typeIfLj2EEiiiiS1_IjLj3EES5_S5_S5_, .Lfunc_end22-_ZL33flash_attn_stream_k_fixup_generalILi512ELi1ELi4EEvPfPK15HIP_vector_typeIfLj2EEiiiiS1_IjLj3EES5_S5_S5_
                                        ; -- End function
	.set _ZL33flash_attn_stream_k_fixup_generalILi512ELi1ELi4EEvPfPK15HIP_vector_typeIfLj2EEiiiiS1_IjLj3EES5_S5_S5_.num_vgpr, 17
	.set _ZL33flash_attn_stream_k_fixup_generalILi512ELi1ELi4EEvPfPK15HIP_vector_typeIfLj2EEiiiiS1_IjLj3EES5_S5_S5_.num_agpr, 0
	.set _ZL33flash_attn_stream_k_fixup_generalILi512ELi1ELi4EEvPfPK15HIP_vector_typeIfLj2EEiiiiS1_IjLj3EES5_S5_S5_.numbered_sgpr, 32
	.set _ZL33flash_attn_stream_k_fixup_generalILi512ELi1ELi4EEvPfPK15HIP_vector_typeIfLj2EEiiiiS1_IjLj3EES5_S5_S5_.num_named_barrier, 0
	.set _ZL33flash_attn_stream_k_fixup_generalILi512ELi1ELi4EEvPfPK15HIP_vector_typeIfLj2EEiiiiS1_IjLj3EES5_S5_S5_.private_seg_size, 0
	.set _ZL33flash_attn_stream_k_fixup_generalILi512ELi1ELi4EEvPfPK15HIP_vector_typeIfLj2EEiiiiS1_IjLj3EES5_S5_S5_.uses_vcc, 1
	.set _ZL33flash_attn_stream_k_fixup_generalILi512ELi1ELi4EEvPfPK15HIP_vector_typeIfLj2EEiiiiS1_IjLj3EES5_S5_S5_.uses_flat_scratch, 0
	.set _ZL33flash_attn_stream_k_fixup_generalILi512ELi1ELi4EEvPfPK15HIP_vector_typeIfLj2EEiiiiS1_IjLj3EES5_S5_S5_.has_dyn_sized_stack, 0
	.set _ZL33flash_attn_stream_k_fixup_generalILi512ELi1ELi4EEvPfPK15HIP_vector_typeIfLj2EEiiiiS1_IjLj3EES5_S5_S5_.has_recursion, 0
	.set _ZL33flash_attn_stream_k_fixup_generalILi512ELi1ELi4EEvPfPK15HIP_vector_typeIfLj2EEiiiiS1_IjLj3EES5_S5_S5_.has_indirect_call, 0
	.section	.AMDGPU.csdata,"",@progbits
; Kernel info:
; codeLenInByte = 2924
; TotalNumSgprs: 34
; NumVgprs: 17
; ScratchSize: 0
; MemoryBound: 0
; FloatMode: 240
; IeeeMode: 1
; LDSByteSize: 0 bytes/workgroup (compile time only)
; SGPRBlocks: 0
; VGPRBlocks: 2
; NumSGPRsForWavesPerEU: 34
; NumVGPRsForWavesPerEU: 17
; Occupancy: 16
; WaveLimiterHint : 0
; COMPUTE_PGM_RSRC2:SCRATCH_EN: 0
; COMPUTE_PGM_RSRC2:USER_SGPR: 6
; COMPUTE_PGM_RSRC2:TRAP_HANDLER: 0
; COMPUTE_PGM_RSRC2:TGID_X_EN: 1
; COMPUTE_PGM_RSRC2:TGID_Y_EN: 1
; COMPUTE_PGM_RSRC2:TGID_Z_EN: 1
; COMPUTE_PGM_RSRC2:TIDIG_COMP_CNT: 0
	.section	.text._ZL15flash_attn_tileILi576ELi512ELi2ELi16ELb1EEvPKcS1_S1_S1_S1_PKiPfP15HIP_vector_typeIfLj2EEffffjfiS5_IjLj3EEiiiiiiiiiiiliiliiiiil,"axG",@progbits,_ZL15flash_attn_tileILi576ELi512ELi2ELi16ELb1EEvPKcS1_S1_S1_S1_PKiPfP15HIP_vector_typeIfLj2EEffffjfiS5_IjLj3EEiiiiiiiiiiiliiliiiiil,comdat
	.globl	_ZL15flash_attn_tileILi576ELi512ELi2ELi16ELb1EEvPKcS1_S1_S1_S1_PKiPfP15HIP_vector_typeIfLj2EEffffjfiS5_IjLj3EEiiiiiiiiiiiliiliiiiil ; -- Begin function _ZL15flash_attn_tileILi576ELi512ELi2ELi16ELb1EEvPKcS1_S1_S1_S1_PKiPfP15HIP_vector_typeIfLj2EEffffjfiS5_IjLj3EEiiiiiiiiiiiliiliiiiil
	.p2align	8
	.type	_ZL15flash_attn_tileILi576ELi512ELi2ELi16ELb1EEvPKcS1_S1_S1_S1_PKiPfP15HIP_vector_typeIfLj2EEffffjfiS5_IjLj3EEiiiiiiiiiiiliiliiiiil,@function
_ZL15flash_attn_tileILi576ELi512ELi2ELi16ELb1EEvPKcS1_S1_S1_S1_PKiPfP15HIP_vector_typeIfLj2EEffffjfiS5_IjLj3EEiiiiiiiiiiiliiliiiiil: ; @_ZL15flash_attn_tileILi576ELi512ELi2ELi16ELb1EEvPKcS1_S1_S1_S1_PKiPfP15HIP_vector_typeIfLj2EEffffjfiS5_IjLj3EEiiiiiiiiiiiliiliiiiil
; %bb.0:
	s_clause 0x1
	s_load_dwordx4 s[0:3], s[4:5], 0x5c
	s_load_dwordx2 s[30:31], s[4:5], 0x80
	s_mov_b32 s28, s7
	s_mov_b64 s[34:35], 0
	s_waitcnt lgkmcnt(0)
	s_ashr_i32 s7, s3, 31
	s_lshr_b32 s7, s7, 28
	s_add_i32 s7, s3, s7
	s_ashr_i32 s7, s7, 4
	v_cvt_f32_u32_e32 v2, s7
	s_sub_i32 s10, 0, s7
	v_rcp_iflag_f32_e32 v2, v2
	v_mul_f32_e32 v2, 0x4f7ffffe, v2
	v_cvt_u32_f32_e32 v2, v2
	v_readfirstlane_b32 s9, v2
	s_mul_i32 s10, s10, s9
	s_mul_hi_u32 s10, s9, s10
	s_add_i32 s9, s9, s10
	s_mul_hi_u32 s9, s8, s9
	s_mul_i32 s10, s9, s7
	s_add_i32 s11, s9, 1
	s_sub_i32 s10, s8, s10
	s_sub_i32 s12, s10, s7
	s_cmp_ge_u32 s10, s7
	s_cselect_b32 s9, s11, s9
	s_cselect_b32 s10, s12, s10
	s_add_i32 s11, s9, 1
	s_cmp_ge_u32 s10, s7
	s_cselect_b32 s33, s11, s9
	s_abs_i32 s7, s31
	s_lshl_b32 s8, s8, 4
	v_cvt_f32_u32_e32 v2, s7
	s_sub_i32 s10, 0, s7
	s_mul_i32 s11, s33, s3
	s_abs_i32 s12, s3
	s_sub_i32 s29, s8, s11
	v_rcp_iflag_f32_e32 v2, v2
	v_mul_f32_e32 v2, 0x4f7ffffe, v2
	v_cvt_u32_f32_e32 v2, v2
	v_readfirstlane_b32 s9, v2
	s_mul_i32 s10, s10, s9
	s_mul_hi_u32 s10, s9, s10
	s_add_i32 s9, s9, s10
	s_mul_hi_u32 s8, s12, s9
	s_xor_b32 s9, s3, s31
	s_mul_i32 s10, s8, s7
	s_ashr_i32 s9, s9, 31
	s_sub_i32 s10, s12, s10
	s_add_i32 s11, s8, 1
	s_sub_i32 s12, s10, s7
	s_cmp_ge_u32 s10, s7
	s_cselect_b32 s8, s11, s8
	s_cselect_b32 s10, s12, s10
	s_add_i32 s11, s8, 1
	s_cmp_ge_u32 s10, s7
	s_cselect_b32 s7, s11, s8
	s_xor_b32 s7, s7, s9
	s_sub_i32 s31, s7, s9
	s_clause 0x1
	s_load_dwordx16 s[8:23], s[4:5], 0x0
	s_load_dwordx2 s[36:37], s[4:5], 0xb8
	s_abs_i32 s7, s31
	v_cvt_f32_u32_e32 v2, s7
	v_rcp_iflag_f32_e32 v2, v2
	v_mul_f32_e32 v2, 0x4f7ffffe, v2
	s_waitcnt lgkmcnt(0)
	s_cmp_eq_u64 s[14:15], 0
	v_cvt_u32_f32_e32 v2, v2
	v_readfirstlane_b32 s38, v2
	s_cbranch_scc1 .LBB23_2
; %bb.1:
	s_abs_i32 s26, s36
	s_abs_i32 s27, s33
	v_cvt_f32_u32_e32 v2, s26
	s_sub_i32 s25, 0, s26
	v_rcp_iflag_f32_e32 v2, v2
	v_mul_f32_e32 v2, 0x4f7ffffe, v2
	v_cvt_u32_f32_e32 v2, v2
	v_readfirstlane_b32 s24, v2
	s_mul_i32 s25, s25, s24
	s_mul_hi_u32 s25, s24, s25
	s_add_i32 s24, s24, s25
	s_mul_hi_u32 s34, s27, s24
	s_load_dwordx2 s[24:25], s[4:5], 0xc8
	s_mul_i32 s34, s34, s26
	s_sub_i32 s27, s27, s34
	s_ashr_i32 s34, s33, 31
	s_sub_i32 s35, s27, s26
	s_cmp_ge_u32 s27, s26
	s_cselect_b32 s27, s35, s27
	s_sub_i32 s35, s27, s26
	s_cmp_ge_u32 s27, s26
	s_cselect_b32 s26, s35, s27
	s_xor_b32 s26, s26, s34
	s_sub_i32 s26, s26, s34
	s_ashr_i32 s27, s26, 31
	s_waitcnt lgkmcnt(0)
	s_mul_hi_u32 s34, s24, s26
	s_mul_i32 s27, s24, s27
	s_mul_i32 s25, s25, s26
	s_add_i32 s27, s34, s27
	s_mul_i32 s24, s24, s26
	s_add_i32 s27, s27, s25
	s_add_u32 s34, s14, s24
	s_addc_u32 s35, s15, s27
.LBB23_2:
	v_lshrrev_b32_e32 v2, 2, v1
	s_load_dwordx4 s[24:27], s[4:5], 0x70
	v_lshlrev_b32_e32 v5, 2, v1
	v_lshlrev_b32_e32 v8, 4, v0
	;; [unrolled: 1-line block ×3, first 2 shown]
	v_lshl_add_u32 v17, s6, 1, v2
	v_mul_u32_u24_e32 v34, 0x1200, v1
	v_and_b32_e32 v31, 12, v5
	v_mad_u32_u24 v16, 0x1200, v1, v33
	v_mul_hi_u32 v2, s0, v17
	v_add_nc_u32_e32 v2, v17, v2
	s_waitcnt lgkmcnt(0)
	s_mul_i32 s14, s29, s25
	s_mov_b32 s0, s25
	v_lshrrev_b32_e32 v2, s1, v2
	s_mul_i32 s1, s33, s26
	s_ashr_i32 s15, s1, 31
	s_add_u32 s1, s8, s1
	v_mul_lo_u32 v2, v2, s2
	s_addc_u32 s8, s9, s15
	s_ashr_i32 s9, s14, 31
	s_add_u32 s14, s1, s14
	s_addc_u32 s15, s8, s9
	s_ashr_i32 s1, s25, 31
	s_ashr_i32 s25, s24, 31
	s_lshr_b64 s[8:9], s[24:25], 2
	v_sub_nc_u32_e32 v4, v17, v2
	v_mad_u64_u32 v[2:3], null, s8, v4, 0
	s_lshr_b32 s8, s25, 2
	v_mad_u64_u32 v[6:7], null, s8, v4, v[3:4]
	s_lshr_b64 s[8:9], s[0:1], 2
	v_mov_b32_e32 v3, v6
	v_mad_u64_u32 v[6:7], null, s8, v31, 0
	v_lshlrev_b64 v[2:3], 2, v[2:3]
	v_mad_i32_i24 v7, s1, v31, v7
	s_load_dword s1, s[4:5], 0x40
	v_add_co_u32 v9, vcc_lo, s14, v2
	v_add_co_ci_u32_e64 v10, null, s15, v3, vcc_lo
	v_lshlrev_b64 v[2:3], 2, v[6:7]
	v_add_co_u32 v6, vcc_lo, v9, v8
	v_add_co_ci_u32_e64 v7, null, 0, v10, vcc_lo
	v_add_co_u32 v2, vcc_lo, v6, v2
	v_add_co_ci_u32_e64 v3, null, v7, v3, vcc_lo
	v_cmp_gt_u32_e32 vcc_lo, 16, v0
	s_clause 0x3
	global_load_dwordx4 v[8:11], v[2:3], off
	global_load_dwordx4 v[12:15], v[2:3], off offset:512
	global_load_dwordx4 v[18:21], v[2:3], off offset:1024
	global_load_dwordx4 v[22:25], v[2:3], off offset:1536
	s_waitcnt vmcnt(3) lgkmcnt(0)
	v_fma_mixlo_f16 v8, s1, v8, 0
	v_fma_mixlo_f16 v9, s1, v9, 0
	;; [unrolled: 1-line block ×4, first 2 shown]
	s_waitcnt vmcnt(2)
	v_fma_mixlo_f16 v12, s1, v12, 0
	v_fma_mixlo_f16 v13, s1, v13, 0
	;; [unrolled: 1-line block ×4, first 2 shown]
	s_waitcnt vmcnt(1)
	v_fma_mixlo_f16 v18, s1, v18, 0
	v_fma_mixlo_f16 v19, s1, v19, 0
	s_waitcnt vmcnt(0)
	v_fma_mixlo_f16 v22, s1, v22, 0
	v_fma_mixlo_f16 v23, s1, v23, 0
	v_lshlrev_b32_e32 v9, 16, v9
	v_and_b32_e32 v8, 0xffff, v8
	v_lshlrev_b32_e32 v11, 16, v11
	v_and_b32_e32 v10, 0xffff, v10
	;; [unrolled: 2-line block ×3, first 2 shown]
	v_fma_mixlo_f16 v20, s1, v20, 0
	v_fma_mixlo_f16 v21, s1, v21, 0
	;; [unrolled: 1-line block ×4, first 2 shown]
	v_lshlrev_b32_e32 v15, 16, v15
	v_and_b32_e32 v14, 0xffff, v14
	v_lshlrev_b32_e32 v19, 16, v19
	v_and_b32_e32 v18, 0xffff, v18
	;; [unrolled: 2-line block ×3, first 2 shown]
	v_or_b32_e32 v8, v9, v8
	v_or3_b32 v9, v11, v10, 0
	v_or_b32_e32 v10, v13, v12
	v_lshlrev_b32_e32 v21, 16, v21
	v_and_b32_e32 v20, 0xffff, v20
	v_lshlrev_b32_e32 v25, 16, v25
	v_and_b32_e32 v24, 0xffff, v24
	v_or3_b32 v11, v15, v14, 0
	v_or_b32_e32 v12, v19, v18
	v_or_b32_e32 v14, v23, v22
	v_or3_b32 v8, 0, 0, v8
	v_or3_b32 v10, 0, 0, v10
	;; [unrolled: 1-line block ×6, first 2 shown]
	ds_write2_b64 v16, v[8:9], v[10:11] offset1:32
	ds_write2_b64 v16, v[12:13], v[14:15] offset0:64 offset1:96
	s_and_saveexec_b32 s14, vcc_lo
	s_cbranch_execz .LBB23_4
; %bb.3:
	v_add_co_u32 v2, s0, 0x800, v2
	v_add_co_ci_u32_e64 v3, null, 0, v3, s0
	global_load_dwordx4 v[8:11], v[2:3], off
	s_waitcnt vmcnt(0)
	v_fma_mixlo_f16 v2, s1, v9, 0
	v_fma_mixlo_f16 v3, s1, v8, 0
	v_fma_mixlo_f16 v8, s1, v10, 0
	v_fma_mixlo_f16 v9, s1, v11, 0
	v_lshlrev_b32_e32 v2, 16, v2
	v_and_b32_e32 v3, 0xffff, v3
	v_and_b32_e32 v8, 0xffff, v8
	v_lshlrev_b32_e32 v9, 16, v9
	v_or_b32_e32 v2, v2, v3
	v_or3_b32 v3, v9, v8, 0
	v_add_nc_u32_e32 v8, v33, v34
	v_or3_b32 v2, 0, 0, v2
	ds_write_b64 v8, v[2:3] offset:1024
.LBB23_4:
	s_or_b32 exec_lo, exec_lo, s14
	v_or_b32_e32 v16, 1, v5
	v_and_b32_e32 v8, 13, v16
	v_mul_u32_u24_e32 v26, 0x480, v16
	v_mad_u32_u24 v27, 0x480, v16, v33
	v_mad_u64_u32 v[2:3], null, s8, v8, 0
	v_mad_u64_u32 v[8:9], null, s9, v8, v[3:4]
	v_mov_b32_e32 v3, v8
	v_lshlrev_b64 v[2:3], 2, v[2:3]
	v_add_co_u32 v2, s0, v6, v2
	v_add_co_ci_u32_e64 v3, null, v7, v3, s0
	s_clause 0x3
	global_load_dwordx4 v[8:11], v[2:3], off
	global_load_dwordx4 v[12:15], v[2:3], off offset:512
	global_load_dwordx4 v[18:21], v[2:3], off offset:1024
	;; [unrolled: 1-line block ×3, first 2 shown]
	s_waitcnt vmcnt(3)
	v_fma_mixlo_f16 v8, s1, v8, 0
	v_fma_mixlo_f16 v9, s1, v9, 0
	v_fma_mixlo_f16 v10, s1, v10, 0
	v_fma_mixlo_f16 v11, s1, v11, 0
	s_waitcnt vmcnt(2)
	v_fma_mixlo_f16 v12, s1, v12, 0
	v_fma_mixlo_f16 v13, s1, v13, 0
	v_fma_mixlo_f16 v14, s1, v14, 0
	v_fma_mixlo_f16 v15, s1, v15, 0
	;; [unrolled: 5-line block ×3, first 2 shown]
	s_waitcnt vmcnt(0)
	v_fma_mixlo_f16 v21, s1, v22, 0
	v_fma_mixlo_f16 v22, s1, v23, 0
	v_lshlrev_b32_e32 v9, 16, v9
	v_and_b32_e32 v8, 0xffff, v8
	v_lshlrev_b32_e32 v11, 16, v11
	v_and_b32_e32 v10, 0xffff, v10
	;; [unrolled: 2-line block ×3, first 2 shown]
	v_fma_mixlo_f16 v23, s1, v24, 0
	v_fma_mixlo_f16 v24, s1, v25, 0
	v_lshlrev_b32_e32 v15, 16, v15
	v_and_b32_e32 v14, 0xffff, v14
	v_lshlrev_b32_e32 v18, 16, v18
	v_and_b32_e32 v16, 0xffff, v16
	v_lshlrev_b32_e32 v22, 16, v22
	v_and_b32_e32 v21, 0xffff, v21
	v_or_b32_e32 v8, v9, v8
	v_or3_b32 v10, v11, v10, 0
	v_or_b32_e32 v11, v13, v12
	v_lshlrev_b32_e32 v20, 16, v20
	v_and_b32_e32 v19, 0xffff, v19
	v_lshlrev_b32_e32 v24, 16, v24
	v_and_b32_e32 v23, 0xffff, v23
	v_or3_b32 v12, v15, v14, 0
	v_or_b32_e32 v13, v18, v16
	v_or_b32_e32 v15, v22, v21
	v_or3_b32 v9, 0, 0, v8
	v_or3_b32 v11, 0, 0, v11
	v_add_nc_u32_e32 v8, v33, v26
	v_or3_b32 v14, v20, v19, 0
	v_or3_b32 v16, v24, v23, 0
	;; [unrolled: 1-line block ×4, first 2 shown]
	ds_write2_b64 v27, v[9:10], v[11:12] offset1:32
	ds_write2_b64 v27, v[13:14], v[15:16] offset0:64 offset1:96
	s_and_saveexec_b32 s14, vcc_lo
	s_cbranch_execz .LBB23_6
; %bb.5:
	v_add_co_u32 v2, s0, 0x800, v2
	v_add_co_ci_u32_e64 v3, null, 0, v3, s0
	global_load_dwordx4 v[9:12], v[2:3], off
	s_waitcnt vmcnt(0)
	v_fma_mixlo_f16 v2, s1, v10, 0
	v_fma_mixlo_f16 v3, s1, v9, 0
	;; [unrolled: 1-line block ×4, first 2 shown]
	v_lshlrev_b32_e32 v2, 16, v2
	v_and_b32_e32 v3, 0xffff, v3
	v_and_b32_e32 v9, 0xffff, v9
	v_lshlrev_b32_e32 v10, 16, v10
	v_or_b32_e32 v2, v2, v3
	v_or3_b32 v3, v10, v9, 0
	v_or3_b32 v2, 0, 0, v2
	ds_write_b64 v8, v[2:3] offset:1024
.LBB23_6:
	s_or_b32 exec_lo, exec_lo, s14
	v_or_b32_e32 v2, 2, v5
	v_and_b32_e32 v9, 14, v2
	v_mad_u64_u32 v[2:3], null, s8, v9, 0
	v_mad_u64_u32 v[9:10], null, s9, v9, v[3:4]
	v_mov_b32_e32 v3, v9
	v_lshlrev_b64 v[2:3], 2, v[2:3]
	v_add_co_u32 v2, s0, v6, v2
	v_add_co_ci_u32_e64 v3, null, v7, v3, s0
	s_clause 0x3
	global_load_dwordx4 v[9:12], v[2:3], off
	global_load_dwordx4 v[13:16], v[2:3], off offset:512
	global_load_dwordx4 v[18:21], v[2:3], off offset:1024
	;; [unrolled: 1-line block ×3, first 2 shown]
	s_waitcnt vmcnt(3)
	v_fma_mixlo_f16 v9, s1, v9, 0
	v_fma_mixlo_f16 v10, s1, v10, 0
	;; [unrolled: 1-line block ×4, first 2 shown]
	s_waitcnt vmcnt(2)
	v_fma_mixlo_f16 v13, s1, v13, 0
	v_fma_mixlo_f16 v14, s1, v14, 0
	v_fma_mixlo_f16 v15, s1, v15, 0
	v_fma_mixlo_f16 v16, s1, v16, 0
	s_waitcnt vmcnt(1)
	v_fma_mixlo_f16 v18, s1, v18, 0
	v_fma_mixlo_f16 v19, s1, v19, 0
	s_waitcnt vmcnt(0)
	v_fma_mixlo_f16 v22, s1, v22, 0
	v_fma_mixlo_f16 v23, s1, v23, 0
	v_lshlrev_b32_e32 v10, 16, v10
	v_and_b32_e32 v9, 0xffff, v9
	v_lshlrev_b32_e32 v12, 16, v12
	v_and_b32_e32 v11, 0xffff, v11
	;; [unrolled: 2-line block ×3, first 2 shown]
	v_fma_mixlo_f16 v20, s1, v20, 0
	v_fma_mixlo_f16 v21, s1, v21, 0
	;; [unrolled: 1-line block ×4, first 2 shown]
	v_lshlrev_b32_e32 v16, 16, v16
	v_and_b32_e32 v15, 0xffff, v15
	v_lshlrev_b32_e32 v19, 16, v19
	v_and_b32_e32 v18, 0xffff, v18
	;; [unrolled: 2-line block ×3, first 2 shown]
	v_or_b32_e32 v9, v10, v9
	v_or3_b32 v10, v12, v11, 0
	v_or_b32_e32 v11, v14, v13
	v_lshlrev_b32_e32 v21, 16, v21
	v_and_b32_e32 v20, 0xffff, v20
	v_lshlrev_b32_e32 v25, 16, v25
	v_and_b32_e32 v24, 0xffff, v24
	v_or3_b32 v12, v16, v15, 0
	v_or_b32_e32 v13, v19, v18
	v_or_b32_e32 v15, v23, v22
	v_or3_b32 v9, 0, 0, v9
	v_or3_b32 v11, 0, 0, v11
	;; [unrolled: 1-line block ×6, first 2 shown]
	ds_write2_b64 v8, v[9:10], v[11:12] offset0:144 offset1:176
	ds_write2_b64 v8, v[13:14], v[15:16] offset0:208 offset1:240
	s_and_saveexec_b32 s14, vcc_lo
	s_cbranch_execz .LBB23_8
; %bb.7:
	v_add_co_u32 v2, s0, 0x800, v2
	v_add_co_ci_u32_e64 v3, null, 0, v3, s0
	global_load_dwordx4 v[9:12], v[2:3], off
	s_waitcnt vmcnt(0)
	v_fma_mixlo_f16 v2, s1, v10, 0
	v_fma_mixlo_f16 v3, s1, v9, 0
	;; [unrolled: 1-line block ×4, first 2 shown]
	v_lshlrev_b32_e32 v2, 16, v2
	v_and_b32_e32 v3, 0xffff, v3
	v_and_b32_e32 v9, 0xffff, v9
	v_lshlrev_b32_e32 v10, 16, v10
	v_or_b32_e32 v2, v2, v3
	v_or3_b32 v3, v10, v9, 0
	v_or3_b32 v2, 0, 0, v2
	ds_write_b64 v8, v[2:3] offset:2176
.LBB23_8:
	s_or_b32 exec_lo, exec_lo, s14
	v_or_b32_e32 v2, 3, v5
	v_add_nc_u32_e32 v26, 0x800, v8
	v_and_b32_e32 v9, 15, v2
	v_mad_u64_u32 v[2:3], null, s8, v9, 0
	v_mad_u64_u32 v[9:10], null, s9, v9, v[3:4]
	v_mov_b32_e32 v3, v9
	v_lshlrev_b64 v[2:3], 2, v[2:3]
	v_add_co_u32 v2, s0, v6, v2
	v_add_co_ci_u32_e64 v3, null, v7, v3, s0
	s_clause 0x3
	global_load_dwordx4 v[9:12], v[2:3], off
	global_load_dwordx4 v[13:16], v[2:3], off offset:512
	global_load_dwordx4 v[18:21], v[2:3], off offset:1024
	;; [unrolled: 1-line block ×3, first 2 shown]
	s_waitcnt vmcnt(3)
	v_fma_mixlo_f16 v6, s1, v9, 0
	v_fma_mixlo_f16 v7, s1, v10, 0
	v_fma_mixlo_f16 v9, s1, v11, 0
	v_fma_mixlo_f16 v10, s1, v12, 0
	s_waitcnt vmcnt(2)
	v_fma_mixlo_f16 v11, s1, v13, 0
	v_fma_mixlo_f16 v12, s1, v14, 0
	v_fma_mixlo_f16 v13, s1, v15, 0
	v_fma_mixlo_f16 v14, s1, v16, 0
	;; [unrolled: 5-line block ×3, first 2 shown]
	s_waitcnt vmcnt(0)
	v_fma_mixlo_f16 v20, s1, v22, 0
	v_fma_mixlo_f16 v21, s1, v23, 0
	v_lshlrev_b32_e32 v7, 16, v7
	v_and_b32_e32 v6, 0xffff, v6
	v_lshlrev_b32_e32 v10, 16, v10
	v_and_b32_e32 v9, 0xffff, v9
	;; [unrolled: 2-line block ×3, first 2 shown]
	v_fma_mixlo_f16 v22, s1, v24, 0
	v_fma_mixlo_f16 v23, s1, v25, 0
	v_lshlrev_b32_e32 v14, 16, v14
	v_and_b32_e32 v13, 0xffff, v13
	v_lshlrev_b32_e32 v16, 16, v16
	v_and_b32_e32 v15, 0xffff, v15
	;; [unrolled: 2-line block ×3, first 2 shown]
	v_or_b32_e32 v6, v7, v6
	v_or3_b32 v7, v10, v9, 0
	v_or_b32_e32 v9, v12, v11
	v_lshlrev_b32_e32 v19, 16, v19
	v_and_b32_e32 v18, 0xffff, v18
	v_lshlrev_b32_e32 v23, 16, v23
	v_and_b32_e32 v22, 0xffff, v22
	v_or3_b32 v10, v14, v13, 0
	v_or_b32_e32 v11, v16, v15
	v_or_b32_e32 v13, v21, v20
	v_or3_b32 v6, 0, 0, v6
	v_or3_b32 v9, 0, 0, v9
	;; [unrolled: 1-line block ×6, first 2 shown]
	ds_write2_b64 v26, v[6:7], v[9:10] offset0:32 offset1:64
	ds_write2_b64 v26, v[11:12], v[13:14] offset0:96 offset1:128
	s_and_saveexec_b32 s0, vcc_lo
	s_cbranch_execz .LBB23_10
; %bb.9:
	v_add_co_u32 v2, vcc_lo, 0x800, v2
	v_add_co_ci_u32_e64 v3, null, 0, v3, vcc_lo
	global_load_dwordx4 v[9:12], v[2:3], off
	s_waitcnt vmcnt(0)
	v_fma_mixlo_f16 v2, s1, v10, 0
	v_fma_mixlo_f16 v3, s1, v9, 0
	;; [unrolled: 1-line block ×4, first 2 shown]
	v_lshlrev_b32_e32 v2, 16, v2
	v_and_b32_e32 v3, 0xffff, v3
	v_and_b32_e32 v6, 0xffff, v6
	v_lshlrev_b32_e32 v7, 16, v7
	v_or_b32_e32 v2, v2, v3
	v_or3_b32 v3, v7, v6, 0
	v_or3_b32 v2, 0, 0, v2
	ds_write_b64 v8, v[2:3] offset:3328
.LBB23_10:
	s_or_b32 exec_lo, exec_lo, s0
	s_cmp_eq_u64 s[18:19], 0
	s_waitcnt lgkmcnt(0)
	s_barrier
	buffer_gl0_inv
	s_cbranch_scc1 .LBB23_12
; %bb.11:
	s_load_dword s0, s[4:5], 0xd0
	s_mov_b32 s1, 0
	s_waitcnt lgkmcnt(0)
	s_mul_i32 s0, s0, s33
	s_add_i32 s0, s0, s6
	s_lshl_b64 s[0:1], s[0:1], 2
	s_add_u32 s0, s18, s0
	s_addc_u32 s1, s19, s1
	s_load_dword s30, s[0:1], 0x0
.LBB23_12:
	v_lshlrev_b32_e32 v32, 2, v0
	v_mbcnt_lo_u32_b32 v36, -1, 0
	s_lshl_b32 s8, s28, 7
	s_waitcnt lgkmcnt(0)
	s_cmp_lt_i32 s8, s30
	s_cbranch_scc1 .LBB23_15
; %bb.13:
	v_mbcnt_lo_u32_b32 v6, -1, 0
	v_mov_b32_e32 v35, 32
	v_xor_b32_e32 v13, 16, v6
	v_xor_b32_e32 v12, 8, v6
	;; [unrolled: 1-line block ×5, first 2 shown]
	s_mov_b32 s1, 0
	s_cbranch_execz .LBB23_16
; %bb.14:
	v_mov_b32_e32 v68, 0
	v_mov_b32_e32 v81, 0
	;; [unrolled: 1-line block ×40, first 2 shown]
	s_branch .LBB23_88
.LBB23_15:
                                        ; implicit-def: $vgpr6
                                        ; implicit-def: $vgpr35
                                        ; implicit-def: $vgpr13
                                        ; implicit-def: $vgpr12
                                        ; implicit-def: $vgpr11
                                        ; implicit-def: $vgpr10
                                        ; implicit-def: $vgpr9
	s_mov_b32 s1, 0
.LBB23_16:
	s_clause 0x1
	s_load_dwordx4 s[24:27], s[4:5], 0x98
	s_load_dwordx2 s[14:15], s[4:5], 0x8c
	s_sub_i32 s0, 0, s7
	s_abs_i32 s6, s29
	s_mul_i32 s0, s0, s38
	s_ashr_i32 s36, s29, 31
	s_mul_hi_u32 s0, s38, s0
	s_ashr_i32 s31, s31, 31
	s_add_i32 s38, s38, s0
	s_ashr_i32 s37, s37, 1
	s_mul_hi_u32 s0, s6, s38
	s_ashr_i32 s38, s33, 31
	s_mul_i32 s39, s0, s7
	s_load_dwordx2 s[18:19], s[4:5], 0xa8
	v_lshrrev_b32_e32 v2, 3, v0
	v_and_b32_e32 v15, 28, v32
	v_lshlrev_b32_e32 v12, 10, v1
	v_mov_b32_e32 v49, 0
	v_mov_b32_e32 v89, 0xfeffffff
	v_add_nc_u32_e32 v3, v2, v5
	s_waitcnt lgkmcnt(0)
	s_ashr_i32 s9, s26, 2
	s_mul_hi_u32 s26, s24, s33
	s_mul_i32 s40, s24, s38
	s_mul_i32 s25, s25, s33
	s_add_i32 s26, s26, s40
	s_mul_i32 s24, s24, s33
	s_ashr_i32 s14, s14, 2
	s_add_i32 s26, s26, s25
	s_add_u32 s10, s10, s24
	s_addc_u32 s11, s11, s26
	s_sub_i32 s6, s6, s39
	s_xor_b32 s24, s36, s31
	s_add_i32 s25, s0, 1
	s_sub_i32 s26, s6, s7
	s_cmp_ge_u32 s6, s7
	v_mul_lo_u32 v2, s14, v3
	s_cselect_b32 s0, s25, s0
	s_cselect_b32 s6, s26, s6
	s_add_i32 s25, s0, 1
	s_cmp_ge_u32 s6, s7
	v_lshlrev_b32_e32 v5, 2, v15
	s_cselect_b32 s0, s25, s0
	v_mul_lo_u32 v11, s9, v1
	s_xor_b32 s0, s0, s24
	v_lshl_add_u32 v1, v32, 2, v12
	s_sub_i32 s0, s0, s24
	v_mad_u32_u24 v10, 0x90, v3, v5
	s_mul_i32 s15, s0, s15
	s_mul_i32 s0, s0, s27
	s_ashr_i32 s24, s15, 31
	s_add_u32 s10, s10, s15
	s_load_dword s15, s[4:5], 0x54
	s_mul_hi_u32 s6, s18, s33
	s_mul_i32 s7, s18, s38
	s_mul_i32 s19, s19, s33
	s_addc_u32 s11, s11, s24
	s_add_i32 s6, s6, s7
	s_mul_i32 s7, s18, s33
	s_add_i32 s6, s6, s19
	s_add_u32 s7, s12, s7
	s_addc_u32 s6, s13, s6
	s_ashr_i32 s13, s0, 31
	s_add_u32 s12, s7, s0
	s_addc_u32 s13, s6, s13
	s_lshl_b32 s0, s14, 5
	v_lshl_add_u32 v13, s9, 3, v11
	v_add_nc_u32_e32 v5, s0, v2
	v_add_nc_u32_e32 v37, 0x9000, v10
	v_ashrrev_i32_e32 v3, 31, v2
	v_add_nc_u32_e32 v38, 0xa200, v10
	v_add_nc_u32_e32 v39, 0xb400, v10
	;; [unrolled: 1-line block ×3, first 2 shown]
	v_ashrrev_i32_e32 v6, 31, v5
	v_add_nc_u32_e32 v40, 0xc600, v10
	v_add_nc_u32_e32 v42, 0xd800, v12
	v_ashrrev_i32_e32 v12, 31, v11
	v_add_nc_u32_e32 v9, s0, v7
	v_ashrrev_i32_e32 v8, 31, v7
	v_ashrrev_i32_e32 v14, 31, v13
	v_mad_u64_u32 v[18:19], null, v4, s37, v[0:1]
	v_ashrrev_i32_e32 v10, 31, v9
	s_mov_b32 s6, 0x9000
	v_lshlrev_b64 v[19:20], 2, v[2:3]
	v_lshlrev_b64 v[21:22], 2, v[5:6]
	;; [unrolled: 1-line block ×6, first 2 shown]
	v_mad_u32_u24 v41, 0x90, v0, s6
	v_add_nc_u32_e32 v43, 0x9000, v1
	v_add_nc_u32_e32 v44, 0x9200, v1
	;; [unrolled: 1-line block ×4, first 2 shown]
	v_lshlrev_b32_e32 v47, 2, v15
	v_mov_b32_e32 v35, 32
	v_mov_b32_e32 v48, 0x10001
	;; [unrolled: 1-line block ×40, first 2 shown]
	s_add_u32 s6, s4, 0xd0
	s_addc_u32 s7, s5, 0
	s_mov_b32 s18, 0xbbbac73d
.LBB23_17:                              ; =>This Loop Header: Depth=1
                                        ;     Child Loop BB23_19 Depth 2
	s_mul_hi_i32 s25, s8, s14
	s_mul_i32 s24, s8, s14
	v_mov_b32_e32 v101, 0
	s_lshl_b64 s[24:25], s[24:25], 2
	v_mov_b32_e32 v99, 0
	v_mov_b32_e32 v93, 0
	;; [unrolled: 1-line block ×15, first 2 shown]
	s_add_u32 s19, s10, s24
	s_addc_u32 s24, s11, s25
	s_mov_b32 s25, 0
	s_branch .LBB23_19
.LBB23_18:                              ;   in Loop: Header=BB23_19 Depth=2
	s_andn2_b32 vcc_lo, exec_lo, s0
	s_cbranch_vccz .LBB23_21
.LBB23_19:                              ;   Parent Loop BB23_17 Depth=1
                                        ; =>  This Inner Loop Header: Depth=2
	s_lshr_b32 s0, s25, 1
	v_lshl_add_u32 v105, s25, 1, v34
	s_lshl_b64 s[26:27], s[0:1], 2
	s_add_u32 s0, s19, s26
	s_addc_u32 s26, s24, s27
	v_add_co_u32 v1, vcc_lo, s0, v19
	v_add_co_ci_u32_e64 v2, null, s26, v20, vcc_lo
	v_add_co_u32 v3, vcc_lo, s0, v21
	v_add_co_ci_u32_e64 v4, null, s26, v22, vcc_lo
	;; [unrolled: 2-line block ×8, first 2 shown]
	s_clause 0x3
	global_load_dwordx4 v[1:4], v[1:2], off
	global_load_dwordx4 v[5:8], v[5:6], off
	;; [unrolled: 1-line block ×4, first 2 shown]
	s_add_i32 s26, s25, 64
	s_waitcnt vmcnt(3)
	ds_write_b128 v37, v[1:4]
	s_waitcnt vmcnt(2)
	ds_write_b128 v38, v[5:8]
	;; [unrolled: 2-line block ×4, first 2 shown]
	s_waitcnt lgkmcnt(0)
	s_barrier
	buffer_gl0_inv
	ds_read_b128 v[1:4], v41
	ds_read_b128 v[5:8], v105
	ds_read_b128 v[9:12], v105 offset:1152
	ds_read_b128 v[13:16], v105 offset:2304
	ds_read_b128 v[106:109], v105 offset:3456
	ds_read_b128 v[110:113], v41 offset:4608
	ds_read_b128 v[114:117], v41 offset:9216
	ds_read_b128 v[118:121], v41 offset:13824
	s_waitcnt lgkmcnt(6)
	;;#ASMSTART
	v_dot2_f32_f16 v101, v1, v5, v101
	;;#ASMEND
	;;#ASMSTART
	v_dot2_f32_f16 v101, v2, v6, v101
	;;#ASMEND
	;;#ASMSTART
	v_dot2_f32_f16 v101, v3, v7, v101
	;;#ASMEND
	;;#ASMSTART
	v_dot2_f32_f16 v101, v4, v8, v101
	;;#ASMEND
	s_waitcnt lgkmcnt(5)
	;;#ASMSTART
	v_dot2_f32_f16 v99, v1, v9, v99
	;;#ASMEND
	;;#ASMSTART
	v_dot2_f32_f16 v99, v2, v10, v99
	;;#ASMEND
	;;#ASMSTART
	v_dot2_f32_f16 v99, v3, v11, v99
	;;#ASMEND
	;;#ASMSTART
	v_dot2_f32_f16 v99, v4, v12, v99
	;;#ASMEND
	;; [unrolled: 13-line block ×5, first 2 shown]
	;;#ASMSTART
	v_dot2_f32_f16 v100, v110, v9, v100
	;;#ASMEND
	;;#ASMSTART
	v_dot2_f32_f16 v100, v111, v10, v100
	;;#ASMEND
	;; [unrolled: 3-line block ×12, first 2 shown]
	s_waitcnt lgkmcnt(1)
	;;#ASMSTART
	v_dot2_f32_f16 v103, v114, v5, v103
	;;#ASMEND
	;;#ASMSTART
	v_dot2_f32_f16 v103, v115, v6, v103
	;;#ASMEND
	;; [unrolled: 3-line block ×16, first 2 shown]
	s_waitcnt lgkmcnt(0)
	;;#ASMSTART
	v_dot2_f32_f16 v104, v118, v5, v104
	;;#ASMEND
	;;#ASMSTART
	v_dot2_f32_f16 v104, v119, v6, v104
	;;#ASMEND
	;; [unrolled: 3-line block ×16, first 2 shown]
	ds_read_b128 v[1:4], v41 offset:16
	ds_read_b128 v[5:8], v105 offset:16
	;; [unrolled: 1-line block ×8, first 2 shown]
	s_waitcnt lgkmcnt(6)
	;;#ASMSTART
	v_dot2_f32_f16 v101, v1, v5, v101
	;;#ASMEND
	;;#ASMSTART
	v_dot2_f32_f16 v101, v2, v6, v101
	;;#ASMEND
	;;#ASMSTART
	v_dot2_f32_f16 v101, v3, v7, v101
	;;#ASMEND
	;;#ASMSTART
	v_dot2_f32_f16 v101, v4, v8, v101
	;;#ASMEND
	s_waitcnt lgkmcnt(5)
	;;#ASMSTART
	v_dot2_f32_f16 v99, v1, v9, v99
	;;#ASMEND
	;;#ASMSTART
	v_dot2_f32_f16 v99, v2, v10, v99
	;;#ASMEND
	;;#ASMSTART
	v_dot2_f32_f16 v99, v3, v11, v99
	;;#ASMEND
	;;#ASMSTART
	v_dot2_f32_f16 v99, v4, v12, v99
	;;#ASMEND
	;; [unrolled: 13-line block ×5, first 2 shown]
	;;#ASMSTART
	v_dot2_f32_f16 v100, v110, v9, v100
	;;#ASMEND
	;;#ASMSTART
	v_dot2_f32_f16 v100, v111, v10, v100
	;;#ASMEND
	;; [unrolled: 3-line block ×12, first 2 shown]
	s_waitcnt lgkmcnt(1)
	;;#ASMSTART
	v_dot2_f32_f16 v103, v114, v5, v103
	;;#ASMEND
	;;#ASMSTART
	v_dot2_f32_f16 v103, v115, v6, v103
	;;#ASMEND
	;; [unrolled: 3-line block ×16, first 2 shown]
	s_waitcnt lgkmcnt(0)
	;;#ASMSTART
	v_dot2_f32_f16 v104, v118, v5, v104
	;;#ASMEND
	;;#ASMSTART
	v_dot2_f32_f16 v104, v119, v6, v104
	;;#ASMEND
	;; [unrolled: 3-line block ×16, first 2 shown]
	ds_read_b128 v[1:4], v41 offset:32
	ds_read_b128 v[5:8], v105 offset:32
	;; [unrolled: 1-line block ×8, first 2 shown]
	s_waitcnt lgkmcnt(6)
	;;#ASMSTART
	v_dot2_f32_f16 v101, v1, v5, v101
	;;#ASMEND
	;;#ASMSTART
	v_dot2_f32_f16 v101, v2, v6, v101
	;;#ASMEND
	;;#ASMSTART
	v_dot2_f32_f16 v101, v3, v7, v101
	;;#ASMEND
	;;#ASMSTART
	v_dot2_f32_f16 v101, v4, v8, v101
	;;#ASMEND
	s_waitcnt lgkmcnt(5)
	;;#ASMSTART
	v_dot2_f32_f16 v99, v1, v9, v99
	;;#ASMEND
	;;#ASMSTART
	v_dot2_f32_f16 v99, v2, v10, v99
	;;#ASMEND
	;;#ASMSTART
	v_dot2_f32_f16 v99, v3, v11, v99
	;;#ASMEND
	;;#ASMSTART
	v_dot2_f32_f16 v99, v4, v12, v99
	;;#ASMEND
	;; [unrolled: 13-line block ×5, first 2 shown]
	;;#ASMSTART
	v_dot2_f32_f16 v100, v110, v9, v100
	;;#ASMEND
	;;#ASMSTART
	v_dot2_f32_f16 v100, v111, v10, v100
	;;#ASMEND
	;; [unrolled: 3-line block ×12, first 2 shown]
	s_waitcnt lgkmcnt(1)
	;;#ASMSTART
	v_dot2_f32_f16 v103, v114, v5, v103
	;;#ASMEND
	;;#ASMSTART
	v_dot2_f32_f16 v103, v115, v6, v103
	;;#ASMEND
	;; [unrolled: 3-line block ×16, first 2 shown]
	s_waitcnt lgkmcnt(0)
	;;#ASMSTART
	v_dot2_f32_f16 v104, v118, v5, v104
	;;#ASMEND
	;;#ASMSTART
	v_dot2_f32_f16 v104, v119, v6, v104
	;;#ASMEND
	;; [unrolled: 3-line block ×16, first 2 shown]
	ds_read_b128 v[1:4], v41 offset:48
	ds_read_b128 v[5:8], v105 offset:48
	;; [unrolled: 1-line block ×8, first 2 shown]
	s_waitcnt lgkmcnt(6)
	;;#ASMSTART
	v_dot2_f32_f16 v101, v1, v5, v101
	;;#ASMEND
	;;#ASMSTART
	v_dot2_f32_f16 v101, v2, v6, v101
	;;#ASMEND
	;;#ASMSTART
	v_dot2_f32_f16 v101, v3, v7, v101
	;;#ASMEND
	;;#ASMSTART
	v_dot2_f32_f16 v101, v4, v8, v101
	;;#ASMEND
	s_waitcnt lgkmcnt(5)
	;;#ASMSTART
	v_dot2_f32_f16 v99, v1, v9, v99
	;;#ASMEND
	;;#ASMSTART
	v_dot2_f32_f16 v99, v2, v10, v99
	;;#ASMEND
	;;#ASMSTART
	v_dot2_f32_f16 v99, v3, v11, v99
	;;#ASMEND
	;;#ASMSTART
	v_dot2_f32_f16 v99, v4, v12, v99
	;;#ASMEND
	;; [unrolled: 13-line block ×5, first 2 shown]
	;;#ASMSTART
	v_dot2_f32_f16 v100, v110, v9, v100
	;;#ASMEND
	;;#ASMSTART
	v_dot2_f32_f16 v100, v111, v10, v100
	;;#ASMEND
	;; [unrolled: 3-line block ×12, first 2 shown]
	s_waitcnt lgkmcnt(1)
	;;#ASMSTART
	v_dot2_f32_f16 v103, v114, v5, v103
	;;#ASMEND
	;;#ASMSTART
	v_dot2_f32_f16 v103, v115, v6, v103
	;;#ASMEND
	;; [unrolled: 3-line block ×16, first 2 shown]
	s_waitcnt lgkmcnt(0)
	;;#ASMSTART
	v_dot2_f32_f16 v104, v118, v5, v104
	;;#ASMEND
	;;#ASMSTART
	v_dot2_f32_f16 v104, v119, v6, v104
	;;#ASMEND
	;; [unrolled: 3-line block ×16, first 2 shown]
	ds_read_b128 v[1:4], v41 offset:64
	ds_read_b128 v[5:8], v105 offset:64
	;; [unrolled: 1-line block ×8, first 2 shown]
	s_waitcnt lgkmcnt(6)
	;;#ASMSTART
	v_dot2_f32_f16 v101, v1, v5, v101
	;;#ASMEND
	;;#ASMSTART
	v_dot2_f32_f16 v101, v2, v6, v101
	;;#ASMEND
	;;#ASMSTART
	v_dot2_f32_f16 v101, v3, v7, v101
	;;#ASMEND
	;;#ASMSTART
	v_dot2_f32_f16 v101, v4, v8, v101
	;;#ASMEND
	s_waitcnt lgkmcnt(5)
	;;#ASMSTART
	v_dot2_f32_f16 v99, v1, v9, v99
	;;#ASMEND
	;;#ASMSTART
	v_dot2_f32_f16 v99, v2, v10, v99
	;;#ASMEND
	;;#ASMSTART
	v_dot2_f32_f16 v99, v3, v11, v99
	;;#ASMEND
	;;#ASMSTART
	v_dot2_f32_f16 v99, v4, v12, v99
	;;#ASMEND
	;; [unrolled: 13-line block ×5, first 2 shown]
	;;#ASMSTART
	v_dot2_f32_f16 v100, v110, v9, v100
	;;#ASMEND
	;;#ASMSTART
	v_dot2_f32_f16 v100, v111, v10, v100
	;;#ASMEND
	;; [unrolled: 3-line block ×12, first 2 shown]
	s_waitcnt lgkmcnt(1)
	;;#ASMSTART
	v_dot2_f32_f16 v103, v114, v5, v103
	;;#ASMEND
	;;#ASMSTART
	v_dot2_f32_f16 v103, v115, v6, v103
	;;#ASMEND
	;; [unrolled: 3-line block ×16, first 2 shown]
	s_waitcnt lgkmcnt(0)
	;;#ASMSTART
	v_dot2_f32_f16 v104, v118, v5, v104
	;;#ASMEND
	;;#ASMSTART
	v_dot2_f32_f16 v104, v119, v6, v104
	;;#ASMEND
	;; [unrolled: 3-line block ×16, first 2 shown]
	ds_read_b128 v[13:16], v41 offset:80
	ds_read_b128 v[1:4], v105 offset:80
	;; [unrolled: 1-line block ×8, first 2 shown]
	s_waitcnt lgkmcnt(6)
	;;#ASMSTART
	v_dot2_f32_f16 v101, v13, v1, v101
	;;#ASMEND
	;;#ASMSTART
	v_dot2_f32_f16 v101, v14, v2, v101
	;;#ASMEND
	;;#ASMSTART
	v_dot2_f32_f16 v101, v15, v3, v101
	;;#ASMEND
	;;#ASMSTART
	v_dot2_f32_f16 v101, v16, v4, v101
	;;#ASMEND
	s_waitcnt lgkmcnt(5)
	;;#ASMSTART
	v_dot2_f32_f16 v99, v13, v5, v99
	;;#ASMEND
	;;#ASMSTART
	v_dot2_f32_f16 v99, v14, v6, v99
	;;#ASMEND
	;;#ASMSTART
	v_dot2_f32_f16 v99, v15, v7, v99
	;;#ASMEND
	;;#ASMSTART
	v_dot2_f32_f16 v99, v16, v8, v99
	;;#ASMEND
	;; [unrolled: 13-line block ×5, first 2 shown]
	;;#ASMSTART
	v_dot2_f32_f16 v100, v110, v5, v100
	;;#ASMEND
	;;#ASMSTART
	v_dot2_f32_f16 v100, v111, v6, v100
	;;#ASMEND
	;; [unrolled: 3-line block ×12, first 2 shown]
	s_waitcnt lgkmcnt(1)
	;;#ASMSTART
	v_dot2_f32_f16 v103, v114, v1, v103
	;;#ASMEND
	;;#ASMSTART
	v_dot2_f32_f16 v103, v115, v2, v103
	;;#ASMEND
	;; [unrolled: 3-line block ×16, first 2 shown]
	s_waitcnt lgkmcnt(0)
	;;#ASMSTART
	v_dot2_f32_f16 v104, v118, v1, v104
	;;#ASMEND
	;;#ASMSTART
	v_dot2_f32_f16 v104, v119, v2, v104
	;;#ASMEND
	;; [unrolled: 3-line block ×16, first 2 shown]
	ds_read_b128 v[1:4], v41 offset:96
	ds_read_b128 v[5:8], v105 offset:96
	;; [unrolled: 1-line block ×8, first 2 shown]
	s_waitcnt lgkmcnt(6)
	;;#ASMSTART
	v_dot2_f32_f16 v101, v1, v5, v101
	;;#ASMEND
	;;#ASMSTART
	v_dot2_f32_f16 v101, v2, v6, v101
	;;#ASMEND
	;;#ASMSTART
	v_dot2_f32_f16 v101, v3, v7, v101
	;;#ASMEND
	;;#ASMSTART
	v_dot2_f32_f16 v101, v4, v8, v101
	;;#ASMEND
	s_waitcnt lgkmcnt(5)
	;;#ASMSTART
	v_dot2_f32_f16 v99, v1, v9, v99
	;;#ASMEND
	;;#ASMSTART
	v_dot2_f32_f16 v99, v2, v10, v99
	;;#ASMEND
	;;#ASMSTART
	v_dot2_f32_f16 v99, v3, v11, v99
	;;#ASMEND
	;;#ASMSTART
	v_dot2_f32_f16 v99, v4, v12, v99
	;;#ASMEND
	;; [unrolled: 13-line block ×5, first 2 shown]
	;;#ASMSTART
	v_dot2_f32_f16 v100, v110, v9, v100
	;;#ASMEND
	;;#ASMSTART
	v_dot2_f32_f16 v100, v111, v10, v100
	;;#ASMEND
	;; [unrolled: 3-line block ×12, first 2 shown]
	s_waitcnt lgkmcnt(1)
	;;#ASMSTART
	v_dot2_f32_f16 v103, v114, v5, v103
	;;#ASMEND
	;;#ASMSTART
	v_dot2_f32_f16 v103, v115, v6, v103
	;;#ASMEND
	;; [unrolled: 3-line block ×16, first 2 shown]
	s_waitcnt lgkmcnt(0)
	;;#ASMSTART
	v_dot2_f32_f16 v104, v118, v5, v104
	;;#ASMEND
	;;#ASMSTART
	v_dot2_f32_f16 v104, v119, v6, v104
	;;#ASMEND
	;; [unrolled: 3-line block ×16, first 2 shown]
	ds_read_b128 v[1:4], v41 offset:112
	ds_read_b128 v[5:8], v105 offset:112
	;; [unrolled: 1-line block ×8, first 2 shown]
	s_waitcnt lgkmcnt(6)
	;;#ASMSTART
	v_dot2_f32_f16 v101, v1, v5, v101
	;;#ASMEND
	;;#ASMSTART
	v_dot2_f32_f16 v101, v2, v6, v101
	;;#ASMEND
	;;#ASMSTART
	v_dot2_f32_f16 v101, v3, v7, v101
	;;#ASMEND
	;;#ASMSTART
	v_dot2_f32_f16 v101, v4, v8, v101
	;;#ASMEND
	s_waitcnt lgkmcnt(5)
	;;#ASMSTART
	v_dot2_f32_f16 v99, v1, v9, v99
	;;#ASMEND
	;;#ASMSTART
	v_dot2_f32_f16 v99, v2, v10, v99
	;;#ASMEND
	;;#ASMSTART
	v_dot2_f32_f16 v99, v3, v11, v99
	;;#ASMEND
	;;#ASMSTART
	v_dot2_f32_f16 v99, v4, v12, v99
	;;#ASMEND
	;; [unrolled: 13-line block ×5, first 2 shown]
	;;#ASMSTART
	v_dot2_f32_f16 v100, v109, v9, v100
	;;#ASMEND
	;;#ASMSTART
	v_dot2_f32_f16 v100, v110, v10, v100
	;;#ASMEND
	;; [unrolled: 3-line block ×11, first 2 shown]
	s_lshr_b32 s0, s26, 1
	;;#ASMSTART
	v_dot2_f32_f16 v92, v112, v108, v92
	;;#ASMEND
	s_waitcnt lgkmcnt(1)
	;;#ASMSTART
	v_dot2_f32_f16 v103, v113, v5, v103
	;;#ASMEND
	;;#ASMSTART
	v_dot2_f32_f16 v103, v114, v6, v103
	;;#ASMEND
	s_lshl_b64 s[36:37], s[0:1], 2
	;;#ASMSTART
	v_dot2_f32_f16 v103, v115, v7, v103
	;;#ASMEND
	;;#ASMSTART
	v_dot2_f32_f16 v103, v116, v8, v103
	;;#ASMEND
	;; [unrolled: 3-line block ×3, first 2 shown]
	s_add_u32 s0, s19, s36
	;;#ASMSTART
	v_dot2_f32_f16 v97, v114, v10, v97
	;;#ASMEND
	;;#ASMSTART
	v_dot2_f32_f16 v97, v115, v11, v97
	;;#ASMEND
	s_addc_u32 s27, s24, s37
	v_add_co_u32 v122, vcc_lo, s0, v19
	;;#ASMSTART
	v_dot2_f32_f16 v97, v116, v12, v97
	;;#ASMEND
	;;#ASMSTART
	v_dot2_f32_f16 v96, v113, v13, v96
	;;#ASMEND
	;; [unrolled: 3-line block ×3, first 2 shown]
	v_add_co_ci_u32_e64 v123, null, s27, v20, vcc_lo
	v_add_co_u32 v124, vcc_lo, s0, v21
	;;#ASMSTART
	v_dot2_f32_f16 v96, v115, v15, v96
	;;#ASMEND
	;;#ASMSTART
	v_dot2_f32_f16 v96, v116, v16, v96
	;;#ASMEND
	;; [unrolled: 3-line block ×3, first 2 shown]
	v_add_co_ci_u32_e64 v125, null, s27, v22, vcc_lo
	v_add_co_u32 v126, vcc_lo, s0, v23
	;;#ASMSTART
	v_dot2_f32_f16 v90, v114, v106, v90
	;;#ASMEND
	;;#ASMSTART
	v_dot2_f32_f16 v90, v115, v107, v90
	;;#ASMEND
	v_add_co_ci_u32_e64 v127, null, s27, v24, vcc_lo
	v_add_co_u32 v128, vcc_lo, s0, v25
	;;#ASMSTART
	v_dot2_f32_f16 v90, v116, v108, v90
	;;#ASMEND
	s_waitcnt lgkmcnt(0)
	;;#ASMSTART
	v_dot2_f32_f16 v104, v117, v5, v104
	;;#ASMEND
	;;#ASMSTART
	v_dot2_f32_f16 v104, v118, v6, v104
	;;#ASMEND
	v_add_co_ci_u32_e64 v129, null, s27, v26, vcc_lo
	v_add_co_u32 v121, vcc_lo, v122, v47
	;;#ASMSTART
	v_dot2_f32_f16 v104, v119, v7, v104
	;;#ASMEND
	;;#ASMSTART
	v_dot2_f32_f16 v104, v120, v8, v104
	;;#ASMEND
	;;#ASMSTART
	v_dot2_f32_f16 v98, v117, v9, v98
	;;#ASMEND
	v_add_co_ci_u32_e64 v122, null, 0, v123, vcc_lo
	v_add_co_u32 v123, vcc_lo, v124, v47
	;;#ASMSTART
	v_dot2_f32_f16 v98, v118, v10, v98
	;;#ASMEND
	;;#ASMSTART
	v_dot2_f32_f16 v98, v119, v11, v98
	;;#ASMEND
	v_add_co_ci_u32_e64 v124, null, 0, v125, vcc_lo
	v_add_co_u32 v125, vcc_lo, v126, v47
	;;#ASMSTART
	v_dot2_f32_f16 v98, v120, v12, v98
	;;#ASMEND
	;;#ASMSTART
	v_dot2_f32_f16 v94, v117, v13, v94
	;;#ASMEND
	;; [unrolled: 3-line block ×3, first 2 shown]
	v_add_co_ci_u32_e64 v126, null, 0, v127, vcc_lo
	v_add_co_u32 v127, vcc_lo, v128, v47
	;;#ASMSTART
	v_dot2_f32_f16 v94, v119, v15, v94
	;;#ASMEND
	;;#ASMSTART
	v_dot2_f32_f16 v94, v120, v16, v94
	;;#ASMEND
	;;#ASMSTART
	v_dot2_f32_f16 v81, v117, v105, v81
	;;#ASMEND
	v_add_co_ci_u32_e64 v128, null, 0, v129, vcc_lo
	;;#ASMSTART
	v_dot2_f32_f16 v81, v118, v106, v81
	;;#ASMEND
	;;#ASMSTART
	v_dot2_f32_f16 v81, v119, v107, v81
	;;#ASMEND
	;; [unrolled: 3-line block ×3, first 2 shown]
	s_barrier
	buffer_gl0_inv
	s_clause 0x3
	global_load_dwordx4 v[1:4], v[121:122], off
	global_load_dwordx4 v[5:8], v[123:124], off
	;; [unrolled: 1-line block ×4, first 2 shown]
	v_lshl_add_u32 v105, s26, 1, v34
	s_add_i32 s26, s25, 0x80
	s_waitcnt vmcnt(3)
	ds_write_b128 v37, v[1:4]
	s_waitcnt vmcnt(2)
	ds_write_b128 v38, v[5:8]
	;; [unrolled: 2-line block ×4, first 2 shown]
	s_waitcnt lgkmcnt(0)
	s_barrier
	buffer_gl0_inv
	ds_read_b128 v[1:4], v41
	ds_read_b128 v[5:8], v105
	ds_read_b128 v[9:12], v105 offset:1152
	ds_read_b128 v[13:16], v105 offset:2304
	;; [unrolled: 1-line block ×6, first 2 shown]
	s_waitcnt lgkmcnt(6)
	;;#ASMSTART
	v_dot2_f32_f16 v101, v1, v5, v101
	;;#ASMEND
	;;#ASMSTART
	v_dot2_f32_f16 v101, v2, v6, v101
	;;#ASMEND
	;;#ASMSTART
	v_dot2_f32_f16 v101, v3, v7, v101
	;;#ASMEND
	;;#ASMSTART
	v_dot2_f32_f16 v101, v4, v8, v101
	;;#ASMEND
	s_waitcnt lgkmcnt(5)
	;;#ASMSTART
	v_dot2_f32_f16 v99, v1, v9, v99
	;;#ASMEND
	;;#ASMSTART
	v_dot2_f32_f16 v99, v2, v10, v99
	;;#ASMEND
	;;#ASMSTART
	v_dot2_f32_f16 v99, v3, v11, v99
	;;#ASMEND
	;;#ASMSTART
	v_dot2_f32_f16 v99, v4, v12, v99
	;;#ASMEND
	;; [unrolled: 13-line block ×5, first 2 shown]
	;;#ASMSTART
	v_dot2_f32_f16 v100, v110, v9, v100
	;;#ASMEND
	;;#ASMSTART
	v_dot2_f32_f16 v100, v111, v10, v100
	;;#ASMEND
	;; [unrolled: 3-line block ×12, first 2 shown]
	s_waitcnt lgkmcnt(1)
	;;#ASMSTART
	v_dot2_f32_f16 v103, v114, v5, v103
	;;#ASMEND
	;;#ASMSTART
	v_dot2_f32_f16 v103, v115, v6, v103
	;;#ASMEND
	;; [unrolled: 3-line block ×16, first 2 shown]
	s_waitcnt lgkmcnt(0)
	;;#ASMSTART
	v_dot2_f32_f16 v104, v118, v5, v104
	;;#ASMEND
	;;#ASMSTART
	v_dot2_f32_f16 v104, v119, v6, v104
	;;#ASMEND
	;; [unrolled: 3-line block ×16, first 2 shown]
	ds_read_b128 v[1:4], v41 offset:16
	ds_read_b128 v[5:8], v105 offset:16
	;; [unrolled: 1-line block ×8, first 2 shown]
	s_waitcnt lgkmcnt(6)
	;;#ASMSTART
	v_dot2_f32_f16 v101, v1, v5, v101
	;;#ASMEND
	;;#ASMSTART
	v_dot2_f32_f16 v101, v2, v6, v101
	;;#ASMEND
	;;#ASMSTART
	v_dot2_f32_f16 v101, v3, v7, v101
	;;#ASMEND
	;;#ASMSTART
	v_dot2_f32_f16 v101, v4, v8, v101
	;;#ASMEND
	s_waitcnt lgkmcnt(5)
	;;#ASMSTART
	v_dot2_f32_f16 v99, v1, v9, v99
	;;#ASMEND
	;;#ASMSTART
	v_dot2_f32_f16 v99, v2, v10, v99
	;;#ASMEND
	;;#ASMSTART
	v_dot2_f32_f16 v99, v3, v11, v99
	;;#ASMEND
	;;#ASMSTART
	v_dot2_f32_f16 v99, v4, v12, v99
	;;#ASMEND
	;; [unrolled: 13-line block ×5, first 2 shown]
	;;#ASMSTART
	v_dot2_f32_f16 v100, v110, v9, v100
	;;#ASMEND
	;;#ASMSTART
	v_dot2_f32_f16 v100, v111, v10, v100
	;;#ASMEND
	;; [unrolled: 3-line block ×12, first 2 shown]
	s_waitcnt lgkmcnt(1)
	;;#ASMSTART
	v_dot2_f32_f16 v103, v114, v5, v103
	;;#ASMEND
	;;#ASMSTART
	v_dot2_f32_f16 v103, v115, v6, v103
	;;#ASMEND
	;; [unrolled: 3-line block ×16, first 2 shown]
	s_waitcnt lgkmcnt(0)
	;;#ASMSTART
	v_dot2_f32_f16 v104, v118, v5, v104
	;;#ASMEND
	;;#ASMSTART
	v_dot2_f32_f16 v104, v119, v6, v104
	;;#ASMEND
	;; [unrolled: 3-line block ×16, first 2 shown]
	ds_read_b128 v[1:4], v41 offset:32
	ds_read_b128 v[5:8], v105 offset:32
	;; [unrolled: 1-line block ×8, first 2 shown]
	s_waitcnt lgkmcnt(6)
	;;#ASMSTART
	v_dot2_f32_f16 v101, v1, v5, v101
	;;#ASMEND
	;;#ASMSTART
	v_dot2_f32_f16 v101, v2, v6, v101
	;;#ASMEND
	;;#ASMSTART
	v_dot2_f32_f16 v101, v3, v7, v101
	;;#ASMEND
	;;#ASMSTART
	v_dot2_f32_f16 v101, v4, v8, v101
	;;#ASMEND
	s_waitcnt lgkmcnt(5)
	;;#ASMSTART
	v_dot2_f32_f16 v99, v1, v9, v99
	;;#ASMEND
	;;#ASMSTART
	v_dot2_f32_f16 v99, v2, v10, v99
	;;#ASMEND
	;;#ASMSTART
	v_dot2_f32_f16 v99, v3, v11, v99
	;;#ASMEND
	;;#ASMSTART
	v_dot2_f32_f16 v99, v4, v12, v99
	;;#ASMEND
	;; [unrolled: 13-line block ×5, first 2 shown]
	;;#ASMSTART
	v_dot2_f32_f16 v100, v110, v9, v100
	;;#ASMEND
	;;#ASMSTART
	v_dot2_f32_f16 v100, v111, v10, v100
	;;#ASMEND
	;; [unrolled: 3-line block ×12, first 2 shown]
	s_waitcnt lgkmcnt(1)
	;;#ASMSTART
	v_dot2_f32_f16 v103, v114, v5, v103
	;;#ASMEND
	;;#ASMSTART
	v_dot2_f32_f16 v103, v115, v6, v103
	;;#ASMEND
	;; [unrolled: 3-line block ×16, first 2 shown]
	s_waitcnt lgkmcnt(0)
	;;#ASMSTART
	v_dot2_f32_f16 v104, v118, v5, v104
	;;#ASMEND
	;;#ASMSTART
	v_dot2_f32_f16 v104, v119, v6, v104
	;;#ASMEND
	;;#ASMSTART
	v_dot2_f32_f16 v104, v120, v7, v104
	;;#ASMEND
	;;#ASMSTART
	v_dot2_f32_f16 v104, v121, v8, v104
	;;#ASMEND
	;;#ASMSTART
	v_dot2_f32_f16 v98, v118, v9, v98
	;;#ASMEND
	;;#ASMSTART
	v_dot2_f32_f16 v98, v119, v10, v98
	;;#ASMEND
	;;#ASMSTART
	v_dot2_f32_f16 v98, v120, v11, v98
	;;#ASMEND
	;;#ASMSTART
	v_dot2_f32_f16 v98, v121, v12, v98
	;;#ASMEND
	;;#ASMSTART
	v_dot2_f32_f16 v94, v118, v13, v94
	;;#ASMEND
	;;#ASMSTART
	v_dot2_f32_f16 v94, v119, v14, v94
	;;#ASMEND
	;;#ASMSTART
	v_dot2_f32_f16 v94, v120, v15, v94
	;;#ASMEND
	;;#ASMSTART
	v_dot2_f32_f16 v94, v121, v16, v94
	;;#ASMEND
	;;#ASMSTART
	v_dot2_f32_f16 v81, v118, v106, v81
	;;#ASMEND
	;;#ASMSTART
	v_dot2_f32_f16 v81, v119, v107, v81
	;;#ASMEND
	;;#ASMSTART
	v_dot2_f32_f16 v81, v120, v108, v81
	;;#ASMEND
	;;#ASMSTART
	v_dot2_f32_f16 v81, v121, v109, v81
	;;#ASMEND
	ds_read_b128 v[1:4], v41 offset:48
	ds_read_b128 v[5:8], v105 offset:48
	ds_read_b128 v[9:12], v105 offset:1200
	ds_read_b128 v[13:16], v105 offset:2352
	ds_read_b128 v[106:109], v105 offset:3504
	ds_read_b128 v[110:113], v41 offset:4656
	ds_read_b128 v[114:117], v41 offset:9264
	ds_read_b128 v[118:121], v41 offset:13872
	s_waitcnt lgkmcnt(6)
	;;#ASMSTART
	v_dot2_f32_f16 v101, v1, v5, v101
	;;#ASMEND
	;;#ASMSTART
	v_dot2_f32_f16 v101, v2, v6, v101
	;;#ASMEND
	;;#ASMSTART
	v_dot2_f32_f16 v101, v3, v7, v101
	;;#ASMEND
	;;#ASMSTART
	v_dot2_f32_f16 v101, v4, v8, v101
	;;#ASMEND
	s_waitcnt lgkmcnt(5)
	;;#ASMSTART
	v_dot2_f32_f16 v99, v1, v9, v99
	;;#ASMEND
	;;#ASMSTART
	v_dot2_f32_f16 v99, v2, v10, v99
	;;#ASMEND
	;;#ASMSTART
	v_dot2_f32_f16 v99, v3, v11, v99
	;;#ASMEND
	;;#ASMSTART
	v_dot2_f32_f16 v99, v4, v12, v99
	;;#ASMEND
	s_waitcnt lgkmcnt(4)
	;;#ASMSTART
	v_dot2_f32_f16 v93, v1, v13, v93
	;;#ASMEND
	;;#ASMSTART
	v_dot2_f32_f16 v93, v2, v14, v93
	;;#ASMEND
	;;#ASMSTART
	v_dot2_f32_f16 v93, v3, v15, v93
	;;#ASMEND
	;;#ASMSTART
	v_dot2_f32_f16 v93, v4, v16, v93
	;;#ASMEND
	s_waitcnt lgkmcnt(3)
	;;#ASMSTART
	v_dot2_f32_f16 v91, v1, v106, v91
	;;#ASMEND
	;;#ASMSTART
	v_dot2_f32_f16 v91, v2, v107, v91
	;;#ASMEND
	;;#ASMSTART
	v_dot2_f32_f16 v91, v3, v108, v91
	;;#ASMEND
	;;#ASMSTART
	v_dot2_f32_f16 v91, v4, v109, v91
	;;#ASMEND
	s_waitcnt lgkmcnt(2)
	;;#ASMSTART
	v_dot2_f32_f16 v102, v110, v5, v102
	;;#ASMEND
	;;#ASMSTART
	v_dot2_f32_f16 v102, v111, v6, v102
	;;#ASMEND
	;;#ASMSTART
	v_dot2_f32_f16 v102, v112, v7, v102
	;;#ASMEND
	;;#ASMSTART
	v_dot2_f32_f16 v102, v113, v8, v102
	;;#ASMEND
	;;#ASMSTART
	v_dot2_f32_f16 v100, v110, v9, v100
	;;#ASMEND
	;;#ASMSTART
	v_dot2_f32_f16 v100, v111, v10, v100
	;;#ASMEND
	;; [unrolled: 3-line block ×12, first 2 shown]
	s_waitcnt lgkmcnt(1)
	;;#ASMSTART
	v_dot2_f32_f16 v103, v114, v5, v103
	;;#ASMEND
	;;#ASMSTART
	v_dot2_f32_f16 v103, v115, v6, v103
	;;#ASMEND
	;; [unrolled: 3-line block ×16, first 2 shown]
	s_waitcnt lgkmcnt(0)
	;;#ASMSTART
	v_dot2_f32_f16 v104, v118, v5, v104
	;;#ASMEND
	;;#ASMSTART
	v_dot2_f32_f16 v104, v119, v6, v104
	;;#ASMEND
	;; [unrolled: 3-line block ×16, first 2 shown]
	ds_read_b128 v[1:4], v41 offset:64
	ds_read_b128 v[5:8], v105 offset:64
	;; [unrolled: 1-line block ×8, first 2 shown]
	s_waitcnt lgkmcnt(6)
	;;#ASMSTART
	v_dot2_f32_f16 v101, v1, v5, v101
	;;#ASMEND
	;;#ASMSTART
	v_dot2_f32_f16 v101, v2, v6, v101
	;;#ASMEND
	;;#ASMSTART
	v_dot2_f32_f16 v101, v3, v7, v101
	;;#ASMEND
	;;#ASMSTART
	v_dot2_f32_f16 v101, v4, v8, v101
	;;#ASMEND
	s_waitcnt lgkmcnt(5)
	;;#ASMSTART
	v_dot2_f32_f16 v99, v1, v9, v99
	;;#ASMEND
	;;#ASMSTART
	v_dot2_f32_f16 v99, v2, v10, v99
	;;#ASMEND
	;;#ASMSTART
	v_dot2_f32_f16 v99, v3, v11, v99
	;;#ASMEND
	;;#ASMSTART
	v_dot2_f32_f16 v99, v4, v12, v99
	;;#ASMEND
	;; [unrolled: 13-line block ×5, first 2 shown]
	;;#ASMSTART
	v_dot2_f32_f16 v100, v110, v9, v100
	;;#ASMEND
	;;#ASMSTART
	v_dot2_f32_f16 v100, v111, v10, v100
	;;#ASMEND
	;; [unrolled: 3-line block ×12, first 2 shown]
	s_waitcnt lgkmcnt(1)
	;;#ASMSTART
	v_dot2_f32_f16 v103, v114, v5, v103
	;;#ASMEND
	;;#ASMSTART
	v_dot2_f32_f16 v103, v115, v6, v103
	;;#ASMEND
	;; [unrolled: 3-line block ×16, first 2 shown]
	s_waitcnt lgkmcnt(0)
	;;#ASMSTART
	v_dot2_f32_f16 v104, v118, v5, v104
	;;#ASMEND
	;;#ASMSTART
	v_dot2_f32_f16 v104, v119, v6, v104
	;;#ASMEND
	;; [unrolled: 3-line block ×16, first 2 shown]
	ds_read_b128 v[13:16], v41 offset:80
	ds_read_b128 v[1:4], v105 offset:80
	;; [unrolled: 1-line block ×8, first 2 shown]
	s_waitcnt lgkmcnt(6)
	;;#ASMSTART
	v_dot2_f32_f16 v101, v13, v1, v101
	;;#ASMEND
	;;#ASMSTART
	v_dot2_f32_f16 v101, v14, v2, v101
	;;#ASMEND
	;;#ASMSTART
	v_dot2_f32_f16 v101, v15, v3, v101
	;;#ASMEND
	;;#ASMSTART
	v_dot2_f32_f16 v101, v16, v4, v101
	;;#ASMEND
	s_waitcnt lgkmcnt(5)
	;;#ASMSTART
	v_dot2_f32_f16 v99, v13, v5, v99
	;;#ASMEND
	;;#ASMSTART
	v_dot2_f32_f16 v99, v14, v6, v99
	;;#ASMEND
	;;#ASMSTART
	v_dot2_f32_f16 v99, v15, v7, v99
	;;#ASMEND
	;;#ASMSTART
	v_dot2_f32_f16 v99, v16, v8, v99
	;;#ASMEND
	;; [unrolled: 13-line block ×5, first 2 shown]
	;;#ASMSTART
	v_dot2_f32_f16 v100, v110, v5, v100
	;;#ASMEND
	;;#ASMSTART
	v_dot2_f32_f16 v100, v111, v6, v100
	;;#ASMEND
	;; [unrolled: 3-line block ×12, first 2 shown]
	s_waitcnt lgkmcnt(1)
	;;#ASMSTART
	v_dot2_f32_f16 v103, v114, v1, v103
	;;#ASMEND
	;;#ASMSTART
	v_dot2_f32_f16 v103, v115, v2, v103
	;;#ASMEND
	;; [unrolled: 3-line block ×16, first 2 shown]
	s_waitcnt lgkmcnt(0)
	;;#ASMSTART
	v_dot2_f32_f16 v104, v118, v1, v104
	;;#ASMEND
	;;#ASMSTART
	v_dot2_f32_f16 v104, v119, v2, v104
	;;#ASMEND
	;; [unrolled: 3-line block ×16, first 2 shown]
	ds_read_b128 v[1:4], v41 offset:96
	ds_read_b128 v[5:8], v105 offset:96
	ds_read_b128 v[9:12], v105 offset:1248
	ds_read_b128 v[13:16], v105 offset:2400
	ds_read_b128 v[106:109], v105 offset:3552
	ds_read_b128 v[110:113], v41 offset:4704
	ds_read_b128 v[114:117], v41 offset:9312
	ds_read_b128 v[118:121], v41 offset:13920
	s_waitcnt lgkmcnt(6)
	;;#ASMSTART
	v_dot2_f32_f16 v101, v1, v5, v101
	;;#ASMEND
	;;#ASMSTART
	v_dot2_f32_f16 v101, v2, v6, v101
	;;#ASMEND
	;;#ASMSTART
	v_dot2_f32_f16 v101, v3, v7, v101
	;;#ASMEND
	;;#ASMSTART
	v_dot2_f32_f16 v101, v4, v8, v101
	;;#ASMEND
	s_waitcnt lgkmcnt(5)
	;;#ASMSTART
	v_dot2_f32_f16 v99, v1, v9, v99
	;;#ASMEND
	;;#ASMSTART
	v_dot2_f32_f16 v99, v2, v10, v99
	;;#ASMEND
	;;#ASMSTART
	v_dot2_f32_f16 v99, v3, v11, v99
	;;#ASMEND
	;;#ASMSTART
	v_dot2_f32_f16 v99, v4, v12, v99
	;;#ASMEND
	;; [unrolled: 13-line block ×5, first 2 shown]
	;;#ASMSTART
	v_dot2_f32_f16 v100, v110, v9, v100
	;;#ASMEND
	;;#ASMSTART
	v_dot2_f32_f16 v100, v111, v10, v100
	;;#ASMEND
	;; [unrolled: 3-line block ×12, first 2 shown]
	s_waitcnt lgkmcnt(1)
	;;#ASMSTART
	v_dot2_f32_f16 v103, v114, v5, v103
	;;#ASMEND
	;;#ASMSTART
	v_dot2_f32_f16 v103, v115, v6, v103
	;;#ASMEND
	;; [unrolled: 3-line block ×16, first 2 shown]
	s_waitcnt lgkmcnt(0)
	;;#ASMSTART
	v_dot2_f32_f16 v104, v118, v5, v104
	;;#ASMEND
	;;#ASMSTART
	v_dot2_f32_f16 v104, v119, v6, v104
	;;#ASMEND
	;; [unrolled: 3-line block ×16, first 2 shown]
	ds_read_b128 v[1:4], v41 offset:112
	ds_read_b128 v[5:8], v105 offset:112
	;; [unrolled: 1-line block ×8, first 2 shown]
	s_waitcnt lgkmcnt(6)
	;;#ASMSTART
	v_dot2_f32_f16 v101, v1, v5, v101
	;;#ASMEND
	;;#ASMSTART
	v_dot2_f32_f16 v101, v2, v6, v101
	;;#ASMEND
	;;#ASMSTART
	v_dot2_f32_f16 v101, v3, v7, v101
	;;#ASMEND
	;;#ASMSTART
	v_dot2_f32_f16 v101, v4, v8, v101
	;;#ASMEND
	s_waitcnt lgkmcnt(5)
	;;#ASMSTART
	v_dot2_f32_f16 v99, v1, v9, v99
	;;#ASMEND
	;;#ASMSTART
	v_dot2_f32_f16 v99, v2, v10, v99
	;;#ASMEND
	;;#ASMSTART
	v_dot2_f32_f16 v99, v3, v11, v99
	;;#ASMEND
	;;#ASMSTART
	v_dot2_f32_f16 v99, v4, v12, v99
	;;#ASMEND
	;; [unrolled: 13-line block ×5, first 2 shown]
	;;#ASMSTART
	v_dot2_f32_f16 v100, v109, v9, v100
	;;#ASMEND
	;;#ASMSTART
	v_dot2_f32_f16 v100, v110, v10, v100
	;;#ASMEND
	;; [unrolled: 3-line block ×11, first 2 shown]
	s_lshr_b32 s0, s26, 1
	;;#ASMSTART
	v_dot2_f32_f16 v92, v112, v108, v92
	;;#ASMEND
	s_waitcnt lgkmcnt(1)
	;;#ASMSTART
	v_dot2_f32_f16 v103, v113, v5, v103
	;;#ASMEND
	;;#ASMSTART
	v_dot2_f32_f16 v103, v114, v6, v103
	;;#ASMEND
	s_lshl_b64 s[36:37], s[0:1], 2
	;;#ASMSTART
	v_dot2_f32_f16 v103, v115, v7, v103
	;;#ASMEND
	;;#ASMSTART
	v_dot2_f32_f16 v103, v116, v8, v103
	;;#ASMEND
	;; [unrolled: 3-line block ×3, first 2 shown]
	s_add_u32 s0, s19, s36
	;;#ASMSTART
	v_dot2_f32_f16 v97, v114, v10, v97
	;;#ASMEND
	;;#ASMSTART
	v_dot2_f32_f16 v97, v115, v11, v97
	;;#ASMEND
	s_addc_u32 s27, s24, s37
	v_add_co_u32 v122, vcc_lo, s0, v19
	;;#ASMSTART
	v_dot2_f32_f16 v97, v116, v12, v97
	;;#ASMEND
	;;#ASMSTART
	v_dot2_f32_f16 v96, v113, v13, v96
	;;#ASMEND
	;; [unrolled: 3-line block ×3, first 2 shown]
	v_add_co_ci_u32_e64 v123, null, s27, v20, vcc_lo
	v_add_co_u32 v124, vcc_lo, s0, v21
	;;#ASMSTART
	v_dot2_f32_f16 v96, v115, v15, v96
	;;#ASMEND
	;;#ASMSTART
	v_dot2_f32_f16 v96, v116, v16, v96
	;;#ASMEND
	;;#ASMSTART
	v_dot2_f32_f16 v90, v113, v105, v90
	;;#ASMEND
	v_add_co_ci_u32_e64 v125, null, s27, v22, vcc_lo
	v_add_co_u32 v126, vcc_lo, s0, v23
	;;#ASMSTART
	v_dot2_f32_f16 v90, v114, v106, v90
	;;#ASMEND
	;;#ASMSTART
	v_dot2_f32_f16 v90, v115, v107, v90
	;;#ASMEND
	v_add_co_ci_u32_e64 v127, null, s27, v24, vcc_lo
	v_add_co_u32 v128, vcc_lo, s0, v25
	;;#ASMSTART
	v_dot2_f32_f16 v90, v116, v108, v90
	;;#ASMEND
	s_waitcnt lgkmcnt(0)
	;;#ASMSTART
	v_dot2_f32_f16 v104, v117, v5, v104
	;;#ASMEND
	;;#ASMSTART
	v_dot2_f32_f16 v104, v118, v6, v104
	;;#ASMEND
	v_add_co_ci_u32_e64 v129, null, s27, v26, vcc_lo
	v_add_co_u32 v121, vcc_lo, v122, v47
	;;#ASMSTART
	v_dot2_f32_f16 v104, v119, v7, v104
	;;#ASMEND
	;;#ASMSTART
	v_dot2_f32_f16 v104, v120, v8, v104
	;;#ASMEND
	;; [unrolled: 3-line block ×3, first 2 shown]
	v_add_co_ci_u32_e64 v122, null, 0, v123, vcc_lo
	v_add_co_u32 v123, vcc_lo, v124, v47
	;;#ASMSTART
	v_dot2_f32_f16 v98, v118, v10, v98
	;;#ASMEND
	;;#ASMSTART
	v_dot2_f32_f16 v98, v119, v11, v98
	;;#ASMEND
	v_add_co_ci_u32_e64 v124, null, 0, v125, vcc_lo
	v_add_co_u32 v125, vcc_lo, v126, v47
	;;#ASMSTART
	v_dot2_f32_f16 v98, v120, v12, v98
	;;#ASMEND
	;;#ASMSTART
	v_dot2_f32_f16 v94, v117, v13, v94
	;;#ASMEND
	;; [unrolled: 3-line block ×3, first 2 shown]
	v_add_co_ci_u32_e64 v126, null, 0, v127, vcc_lo
	v_add_co_u32 v127, vcc_lo, v128, v47
	;;#ASMSTART
	v_dot2_f32_f16 v94, v119, v15, v94
	;;#ASMEND
	;;#ASMSTART
	v_dot2_f32_f16 v94, v120, v16, v94
	;;#ASMEND
	;; [unrolled: 3-line block ×3, first 2 shown]
	v_add_co_ci_u32_e64 v128, null, 0, v129, vcc_lo
	;;#ASMSTART
	v_dot2_f32_f16 v81, v118, v106, v81
	;;#ASMEND
	;;#ASMSTART
	v_dot2_f32_f16 v81, v119, v107, v81
	;;#ASMEND
	;; [unrolled: 3-line block ×3, first 2 shown]
	s_barrier
	buffer_gl0_inv
	s_clause 0x3
	global_load_dwordx4 v[2:5], v[121:122], off
	global_load_dwordx4 v[6:9], v[123:124], off
	;; [unrolled: 1-line block ×4, first 2 shown]
	v_lshl_add_u32 v1, s26, 1, v34
	s_waitcnt vmcnt(3)
	ds_write_b128 v37, v[2:5]
	s_waitcnt vmcnt(2)
	ds_write_b128 v38, v[6:9]
	;; [unrolled: 2-line block ×4, first 2 shown]
	s_waitcnt lgkmcnt(0)
	s_barrier
	buffer_gl0_inv
	ds_read_b128 v[2:5], v41
	ds_read_b128 v[6:9], v1
	ds_read_b128 v[10:13], v1 offset:1152
	ds_read_b128 v[105:108], v1 offset:2304
	;; [unrolled: 1-line block ×6, first 2 shown]
	s_waitcnt lgkmcnt(6)
	;;#ASMSTART
	v_dot2_f32_f16 v101, v2, v6, v101
	;;#ASMEND
	;;#ASMSTART
	v_dot2_f32_f16 v101, v3, v7, v101
	;;#ASMEND
	;;#ASMSTART
	v_dot2_f32_f16 v101, v4, v8, v101
	;;#ASMEND
	;;#ASMSTART
	v_dot2_f32_f16 v101, v5, v9, v101
	;;#ASMEND
	s_waitcnt lgkmcnt(5)
	;;#ASMSTART
	v_dot2_f32_f16 v99, v2, v10, v99
	;;#ASMEND
	;;#ASMSTART
	v_dot2_f32_f16 v99, v3, v11, v99
	;;#ASMEND
	;;#ASMSTART
	v_dot2_f32_f16 v99, v4, v12, v99
	;;#ASMEND
	;;#ASMSTART
	v_dot2_f32_f16 v99, v5, v13, v99
	;;#ASMEND
	;; [unrolled: 13-line block ×5, first 2 shown]
	;;#ASMSTART
	v_dot2_f32_f16 v100, v113, v10, v100
	;;#ASMEND
	;;#ASMSTART
	v_dot2_f32_f16 v100, v114, v11, v100
	;;#ASMEND
	;; [unrolled: 3-line block ×12, first 2 shown]
	s_waitcnt lgkmcnt(1)
	;;#ASMSTART
	v_dot2_f32_f16 v103, v117, v6, v103
	;;#ASMEND
	;;#ASMSTART
	v_dot2_f32_f16 v103, v118, v7, v103
	;;#ASMEND
	;; [unrolled: 3-line block ×16, first 2 shown]
	s_waitcnt lgkmcnt(0)
	;;#ASMSTART
	v_dot2_f32_f16 v104, v121, v6, v104
	;;#ASMEND
	;;#ASMSTART
	v_dot2_f32_f16 v104, v122, v7, v104
	;;#ASMEND
	;; [unrolled: 3-line block ×16, first 2 shown]
	ds_read_b128 v[2:5], v41 offset:16
	ds_read_b128 v[6:9], v1 offset:16
	;; [unrolled: 1-line block ×8, first 2 shown]
	s_waitcnt lgkmcnt(6)
	;;#ASMSTART
	v_dot2_f32_f16 v101, v2, v6, v101
	;;#ASMEND
	;;#ASMSTART
	v_dot2_f32_f16 v101, v3, v7, v101
	;;#ASMEND
	;;#ASMSTART
	v_dot2_f32_f16 v101, v4, v8, v101
	;;#ASMEND
	;;#ASMSTART
	v_dot2_f32_f16 v101, v5, v9, v101
	;;#ASMEND
	s_waitcnt lgkmcnt(5)
	;;#ASMSTART
	v_dot2_f32_f16 v99, v2, v10, v99
	;;#ASMEND
	;;#ASMSTART
	v_dot2_f32_f16 v99, v3, v11, v99
	;;#ASMEND
	;;#ASMSTART
	v_dot2_f32_f16 v99, v4, v12, v99
	;;#ASMEND
	;;#ASMSTART
	v_dot2_f32_f16 v99, v5, v13, v99
	;;#ASMEND
	;; [unrolled: 13-line block ×5, first 2 shown]
	;;#ASMSTART
	v_dot2_f32_f16 v100, v113, v10, v100
	;;#ASMEND
	;;#ASMSTART
	v_dot2_f32_f16 v100, v114, v11, v100
	;;#ASMEND
	;; [unrolled: 3-line block ×12, first 2 shown]
	s_waitcnt lgkmcnt(1)
	;;#ASMSTART
	v_dot2_f32_f16 v103, v117, v6, v103
	;;#ASMEND
	;;#ASMSTART
	v_dot2_f32_f16 v103, v118, v7, v103
	;;#ASMEND
	;; [unrolled: 3-line block ×16, first 2 shown]
	s_waitcnt lgkmcnt(0)
	;;#ASMSTART
	v_dot2_f32_f16 v104, v121, v6, v104
	;;#ASMEND
	;;#ASMSTART
	v_dot2_f32_f16 v104, v122, v7, v104
	;;#ASMEND
	;; [unrolled: 3-line block ×16, first 2 shown]
	ds_read_b128 v[2:5], v41 offset:32
	ds_read_b128 v[6:9], v1 offset:32
	;; [unrolled: 1-line block ×8, first 2 shown]
	s_waitcnt lgkmcnt(6)
	;;#ASMSTART
	v_dot2_f32_f16 v101, v2, v6, v101
	;;#ASMEND
	;;#ASMSTART
	v_dot2_f32_f16 v101, v3, v7, v101
	;;#ASMEND
	;;#ASMSTART
	v_dot2_f32_f16 v101, v4, v8, v101
	;;#ASMEND
	;;#ASMSTART
	v_dot2_f32_f16 v101, v5, v9, v101
	;;#ASMEND
	s_waitcnt lgkmcnt(5)
	;;#ASMSTART
	v_dot2_f32_f16 v99, v2, v10, v99
	;;#ASMEND
	;;#ASMSTART
	v_dot2_f32_f16 v99, v3, v11, v99
	;;#ASMEND
	;;#ASMSTART
	v_dot2_f32_f16 v99, v4, v12, v99
	;;#ASMEND
	;;#ASMSTART
	v_dot2_f32_f16 v99, v5, v13, v99
	;;#ASMEND
	;; [unrolled: 13-line block ×5, first 2 shown]
	;;#ASMSTART
	v_dot2_f32_f16 v100, v113, v10, v100
	;;#ASMEND
	;;#ASMSTART
	v_dot2_f32_f16 v100, v114, v11, v100
	;;#ASMEND
	;; [unrolled: 3-line block ×12, first 2 shown]
	s_waitcnt lgkmcnt(1)
	;;#ASMSTART
	v_dot2_f32_f16 v103, v117, v6, v103
	;;#ASMEND
	;;#ASMSTART
	v_dot2_f32_f16 v103, v118, v7, v103
	;;#ASMEND
	;; [unrolled: 3-line block ×16, first 2 shown]
	s_waitcnt lgkmcnt(0)
	;;#ASMSTART
	v_dot2_f32_f16 v104, v121, v6, v104
	;;#ASMEND
	;;#ASMSTART
	v_dot2_f32_f16 v104, v122, v7, v104
	;;#ASMEND
	;; [unrolled: 3-line block ×16, first 2 shown]
	ds_read_b128 v[2:5], v41 offset:48
	ds_read_b128 v[6:9], v1 offset:48
	;; [unrolled: 1-line block ×8, first 2 shown]
	s_waitcnt lgkmcnt(6)
	;;#ASMSTART
	v_dot2_f32_f16 v101, v2, v6, v101
	;;#ASMEND
	;;#ASMSTART
	v_dot2_f32_f16 v101, v3, v7, v101
	;;#ASMEND
	;;#ASMSTART
	v_dot2_f32_f16 v101, v4, v8, v101
	;;#ASMEND
	;;#ASMSTART
	v_dot2_f32_f16 v101, v5, v9, v101
	;;#ASMEND
	s_waitcnt lgkmcnt(5)
	;;#ASMSTART
	v_dot2_f32_f16 v99, v2, v10, v99
	;;#ASMEND
	;;#ASMSTART
	v_dot2_f32_f16 v99, v3, v11, v99
	;;#ASMEND
	;;#ASMSTART
	v_dot2_f32_f16 v99, v4, v12, v99
	;;#ASMEND
	;;#ASMSTART
	v_dot2_f32_f16 v99, v5, v13, v99
	;;#ASMEND
	;; [unrolled: 13-line block ×5, first 2 shown]
	;;#ASMSTART
	v_dot2_f32_f16 v100, v113, v10, v100
	;;#ASMEND
	;;#ASMSTART
	v_dot2_f32_f16 v100, v114, v11, v100
	;;#ASMEND
	;; [unrolled: 3-line block ×12, first 2 shown]
	s_waitcnt lgkmcnt(1)
	;;#ASMSTART
	v_dot2_f32_f16 v103, v117, v6, v103
	;;#ASMEND
	;;#ASMSTART
	v_dot2_f32_f16 v103, v118, v7, v103
	;;#ASMEND
	;; [unrolled: 3-line block ×16, first 2 shown]
	s_waitcnt lgkmcnt(0)
	;;#ASMSTART
	v_dot2_f32_f16 v104, v121, v6, v104
	;;#ASMEND
	;;#ASMSTART
	v_dot2_f32_f16 v104, v122, v7, v104
	;;#ASMEND
	;; [unrolled: 3-line block ×16, first 2 shown]
	ds_read_b128 v[2:5], v41 offset:64
	ds_read_b128 v[6:9], v1 offset:64
	;; [unrolled: 1-line block ×8, first 2 shown]
	s_waitcnt lgkmcnt(6)
	;;#ASMSTART
	v_dot2_f32_f16 v101, v2, v6, v101
	;;#ASMEND
	;;#ASMSTART
	v_dot2_f32_f16 v101, v3, v7, v101
	;;#ASMEND
	;;#ASMSTART
	v_dot2_f32_f16 v101, v4, v8, v101
	;;#ASMEND
	;;#ASMSTART
	v_dot2_f32_f16 v101, v5, v9, v101
	;;#ASMEND
	s_waitcnt lgkmcnt(5)
	;;#ASMSTART
	v_dot2_f32_f16 v99, v2, v10, v99
	;;#ASMEND
	;;#ASMSTART
	v_dot2_f32_f16 v99, v3, v11, v99
	;;#ASMEND
	;;#ASMSTART
	v_dot2_f32_f16 v99, v4, v12, v99
	;;#ASMEND
	;;#ASMSTART
	v_dot2_f32_f16 v99, v5, v13, v99
	;;#ASMEND
	;; [unrolled: 13-line block ×5, first 2 shown]
	;;#ASMSTART
	v_dot2_f32_f16 v100, v113, v10, v100
	;;#ASMEND
	;;#ASMSTART
	v_dot2_f32_f16 v100, v114, v11, v100
	;;#ASMEND
	;; [unrolled: 3-line block ×12, first 2 shown]
	s_waitcnt lgkmcnt(1)
	;;#ASMSTART
	v_dot2_f32_f16 v103, v117, v6, v103
	;;#ASMEND
	;;#ASMSTART
	v_dot2_f32_f16 v103, v118, v7, v103
	;;#ASMEND
	;; [unrolled: 3-line block ×16, first 2 shown]
	s_waitcnt lgkmcnt(0)
	;;#ASMSTART
	v_dot2_f32_f16 v104, v121, v6, v104
	;;#ASMEND
	;;#ASMSTART
	v_dot2_f32_f16 v104, v122, v7, v104
	;;#ASMEND
	;; [unrolled: 3-line block ×16, first 2 shown]
	ds_read_b128 v[2:5], v41 offset:80
	ds_read_b128 v[6:9], v1 offset:80
	;; [unrolled: 1-line block ×8, first 2 shown]
	s_waitcnt lgkmcnt(6)
	;;#ASMSTART
	v_dot2_f32_f16 v101, v2, v6, v101
	;;#ASMEND
	;;#ASMSTART
	v_dot2_f32_f16 v101, v3, v7, v101
	;;#ASMEND
	;;#ASMSTART
	v_dot2_f32_f16 v101, v4, v8, v101
	;;#ASMEND
	;;#ASMSTART
	v_dot2_f32_f16 v101, v5, v9, v101
	;;#ASMEND
	s_waitcnt lgkmcnt(5)
	;;#ASMSTART
	v_dot2_f32_f16 v99, v2, v10, v99
	;;#ASMEND
	;;#ASMSTART
	v_dot2_f32_f16 v99, v3, v11, v99
	;;#ASMEND
	;;#ASMSTART
	v_dot2_f32_f16 v99, v4, v12, v99
	;;#ASMEND
	;;#ASMSTART
	v_dot2_f32_f16 v99, v5, v13, v99
	;;#ASMEND
	;; [unrolled: 13-line block ×5, first 2 shown]
	;;#ASMSTART
	v_dot2_f32_f16 v100, v113, v10, v100
	;;#ASMEND
	;;#ASMSTART
	v_dot2_f32_f16 v100, v114, v11, v100
	;;#ASMEND
	;; [unrolled: 3-line block ×12, first 2 shown]
	s_waitcnt lgkmcnt(1)
	;;#ASMSTART
	v_dot2_f32_f16 v103, v117, v6, v103
	;;#ASMEND
	;;#ASMSTART
	v_dot2_f32_f16 v103, v118, v7, v103
	;;#ASMEND
	;; [unrolled: 3-line block ×16, first 2 shown]
	s_waitcnt lgkmcnt(0)
	;;#ASMSTART
	v_dot2_f32_f16 v104, v121, v6, v104
	;;#ASMEND
	;;#ASMSTART
	v_dot2_f32_f16 v104, v122, v7, v104
	;;#ASMEND
	;; [unrolled: 3-line block ×16, first 2 shown]
	ds_read_b128 v[2:5], v41 offset:96
	ds_read_b128 v[6:9], v1 offset:96
	;; [unrolled: 1-line block ×8, first 2 shown]
	s_waitcnt lgkmcnt(6)
	;;#ASMSTART
	v_dot2_f32_f16 v101, v2, v6, v101
	;;#ASMEND
	;;#ASMSTART
	v_dot2_f32_f16 v101, v3, v7, v101
	;;#ASMEND
	;;#ASMSTART
	v_dot2_f32_f16 v101, v4, v8, v101
	;;#ASMEND
	;;#ASMSTART
	v_dot2_f32_f16 v101, v5, v9, v101
	;;#ASMEND
	s_waitcnt lgkmcnt(5)
	;;#ASMSTART
	v_dot2_f32_f16 v99, v2, v10, v99
	;;#ASMEND
	;;#ASMSTART
	v_dot2_f32_f16 v99, v3, v11, v99
	;;#ASMEND
	;;#ASMSTART
	v_dot2_f32_f16 v99, v4, v12, v99
	;;#ASMEND
	;;#ASMSTART
	v_dot2_f32_f16 v99, v5, v13, v99
	;;#ASMEND
	;; [unrolled: 13-line block ×5, first 2 shown]
	;;#ASMSTART
	v_dot2_f32_f16 v100, v113, v10, v100
	;;#ASMEND
	;;#ASMSTART
	v_dot2_f32_f16 v100, v114, v11, v100
	;;#ASMEND
	;; [unrolled: 3-line block ×12, first 2 shown]
	s_waitcnt lgkmcnt(1)
	;;#ASMSTART
	v_dot2_f32_f16 v103, v117, v6, v103
	;;#ASMEND
	;;#ASMSTART
	v_dot2_f32_f16 v103, v118, v7, v103
	;;#ASMEND
	;; [unrolled: 3-line block ×16, first 2 shown]
	s_waitcnt lgkmcnt(0)
	;;#ASMSTART
	v_dot2_f32_f16 v104, v121, v6, v104
	;;#ASMEND
	;;#ASMSTART
	v_dot2_f32_f16 v104, v122, v7, v104
	;;#ASMEND
	;; [unrolled: 3-line block ×16, first 2 shown]
	ds_read_b128 v[2:5], v41 offset:112
	ds_read_b128 v[6:9], v1 offset:112
	;; [unrolled: 1-line block ×8, first 2 shown]
	s_waitcnt lgkmcnt(6)
	;;#ASMSTART
	v_dot2_f32_f16 v101, v2, v6, v101
	;;#ASMEND
	;;#ASMSTART
	v_dot2_f32_f16 v101, v3, v7, v101
	;;#ASMEND
	;;#ASMSTART
	v_dot2_f32_f16 v101, v4, v8, v101
	;;#ASMEND
	;;#ASMSTART
	v_dot2_f32_f16 v101, v5, v9, v101
	;;#ASMEND
	s_waitcnt lgkmcnt(5)
	;;#ASMSTART
	v_dot2_f32_f16 v99, v2, v10, v99
	;;#ASMEND
	;;#ASMSTART
	v_dot2_f32_f16 v99, v3, v11, v99
	;;#ASMEND
	;;#ASMSTART
	v_dot2_f32_f16 v99, v4, v12, v99
	;;#ASMEND
	;;#ASMSTART
	v_dot2_f32_f16 v99, v5, v13, v99
	;;#ASMEND
	;; [unrolled: 13-line block ×5, first 2 shown]
	;;#ASMSTART
	v_dot2_f32_f16 v100, v113, v10, v100
	;;#ASMEND
	;;#ASMSTART
	v_dot2_f32_f16 v100, v114, v11, v100
	;;#ASMEND
	;; [unrolled: 3-line block ×12, first 2 shown]
	s_waitcnt lgkmcnt(1)
	;;#ASMSTART
	v_dot2_f32_f16 v103, v117, v6, v103
	;;#ASMEND
	;;#ASMSTART
	v_dot2_f32_f16 v103, v118, v7, v103
	;;#ASMEND
	;; [unrolled: 3-line block ×16, first 2 shown]
	s_waitcnt lgkmcnt(0)
	;;#ASMSTART
	v_dot2_f32_f16 v104, v121, v6, v104
	;;#ASMEND
	;;#ASMSTART
	v_dot2_f32_f16 v104, v122, v7, v104
	;;#ASMEND
	;; [unrolled: 3-line block ×13, first 2 shown]
	s_cmpk_gt_u32 s25, 0x17f
	;;#ASMSTART
	v_dot2_f32_f16 v81, v122, v110, v81
	;;#ASMEND
	s_mov_b32 s0, -1
	;;#ASMSTART
	v_dot2_f32_f16 v81, v123, v111, v81
	;;#ASMEND
	;;#ASMSTART
	v_dot2_f32_f16 v81, v124, v112, v81
	;;#ASMEND
	s_cbranch_scc1 .LBB23_18
; %bb.20:                               ;   in Loop: Header=BB23_19 Depth=2
	s_barrier
	s_addk_i32 s25, 0xc0
	s_mov_b32 s0, 0
	buffer_gl0_inv
	s_branch .LBB23_18
.LBB23_21:                              ;   in Loop: Header=BB23_17 Depth=1
	v_cmp_ngt_f32_e64 s0, 0x3f200000, |v101|
                                        ; implicit-def: $vgpr3
	s_and_saveexec_b32 s19, s0
	s_xor_b32 s0, exec_lo, s19
	s_cbranch_execz .LBB23_23
; %bb.22:                               ;   in Loop: Header=BB23_17 Depth=1
	v_add_f32_e64 v1, |v101|, |v101|
	v_mul_f32_e32 v2, 0x3fb8aa3b, v1
	v_cmp_ngt_f32_e32 vcc_lo, 0xc2ce8ed0, v1
	v_rndne_f32_e32 v3, v2
	v_fma_f32 v4, 0x3fb8aa3b, v1, -v2
	v_sub_f32_e32 v2, v2, v3
	v_fmac_f32_e32 v4, 0x32a5705f, v1
	v_cvt_i32_f32_e32 v3, v3
	v_add_f32_e32 v2, v2, v4
	v_exp_f32_e32 v2, v2
	v_ldexp_f32 v2, v2, v3
	v_cndmask_b32_e32 v2, 0, v2, vcc_lo
	v_cmp_nlt_f32_e32 vcc_lo, 0x42b17218, v1
	v_cndmask_b32_e32 v1, 0x7f800000, v2, vcc_lo
	v_add_f32_e32 v1, 1.0, v1
	v_rcp_f32_e32 v1, v1
	v_fma_f32 v3, v1, -2.0, 1.0
.LBB23_23:                              ;   in Loop: Header=BB23_17 Depth=1
	s_andn2_saveexec_b32 s0, s0
	s_cbranch_execz .LBB23_25
; %bb.24:                               ;   in Loop: Header=BB23_17 Depth=1
	v_mul_f32_e32 v1, v101, v101
	v_fmaak_f32 v2, s18, v1, 0x3ca908c9
	v_fmaak_f32 v2, v1, v2, 0xbd5c1c4e
	;; [unrolled: 1-line block ×4, first 2 shown]
	v_mul_f32_e64 v2, |v101|, v2
	v_fma_f32 v3, v1, v2, |v101|
.LBB23_25:                              ;   in Loop: Header=BB23_17 Depth=1
	s_or_b32 exec_lo, exec_lo, s0
	v_add_nc_u32_e32 v1, s8, v18
	v_cmp_ngt_f32_e64 s0, 0x3f200000, |v102|
                                        ; implicit-def: $vgpr4
	v_ashrrev_i32_e32 v2, 31, v1
	v_lshlrev_b64 v[1:2], 1, v[1:2]
	v_add_co_u32 v1, vcc_lo, s34, v1
	v_add_co_ci_u32_e64 v2, null, s35, v2, vcc_lo
	global_load_ushort v5, v[1:2], off
	s_and_saveexec_b32 s19, s0
	s_xor_b32 s0, exec_lo, s19
	s_cbranch_execz .LBB23_27
; %bb.26:                               ;   in Loop: Header=BB23_17 Depth=1
	v_add_f32_e64 v4, |v102|, |v102|
	v_mul_f32_e32 v6, 0x3fb8aa3b, v4
	v_cmp_ngt_f32_e32 vcc_lo, 0xc2ce8ed0, v4
	v_rndne_f32_e32 v7, v6
	v_fma_f32 v8, 0x3fb8aa3b, v4, -v6
	v_sub_f32_e32 v6, v6, v7
	v_fmac_f32_e32 v8, 0x32a5705f, v4
	v_cvt_i32_f32_e32 v7, v7
	v_add_f32_e32 v6, v6, v8
	v_exp_f32_e32 v6, v6
	v_ldexp_f32 v6, v6, v7
	v_cndmask_b32_e32 v6, 0, v6, vcc_lo
	v_cmp_nlt_f32_e32 vcc_lo, 0x42b17218, v4
	v_cndmask_b32_e32 v4, 0x7f800000, v6, vcc_lo
	v_add_f32_e32 v4, 1.0, v4
	v_rcp_f32_e32 v4, v4
	v_fma_f32 v4, v4, -2.0, 1.0
.LBB23_27:                              ;   in Loop: Header=BB23_17 Depth=1
	s_andn2_saveexec_b32 s0, s0
	s_cbranch_execz .LBB23_29
; %bb.28:                               ;   in Loop: Header=BB23_17 Depth=1
	v_mul_f32_e32 v4, v102, v102
	v_fmaak_f32 v6, s18, v4, 0x3ca908c9
	v_fmaak_f32 v6, v4, v6, 0xbd5c1c4e
	;; [unrolled: 1-line block ×4, first 2 shown]
	v_mul_f32_e64 v6, |v102|, v6
	v_fma_f32 v4, v4, v6, |v102|
.LBB23_29:                              ;   in Loop: Header=BB23_17 Depth=1
	s_or_b32 exec_lo, exec_lo, s0
	global_load_ushort v6, v[1:2], off offset:64
	v_cmp_ngt_f32_e64 s0, 0x3f200000, |v103|
                                        ; implicit-def: $vgpr7
	s_and_saveexec_b32 s19, s0
	s_xor_b32 s0, exec_lo, s19
	s_cbranch_execz .LBB23_31
; %bb.30:                               ;   in Loop: Header=BB23_17 Depth=1
	v_add_f32_e64 v7, |v103|, |v103|
	v_mul_f32_e32 v8, 0x3fb8aa3b, v7
	v_cmp_ngt_f32_e32 vcc_lo, 0xc2ce8ed0, v7
	v_rndne_f32_e32 v9, v8
	v_fma_f32 v10, 0x3fb8aa3b, v7, -v8
	v_sub_f32_e32 v8, v8, v9
	v_fmac_f32_e32 v10, 0x32a5705f, v7
	v_cvt_i32_f32_e32 v9, v9
	v_add_f32_e32 v8, v8, v10
	v_exp_f32_e32 v8, v8
	v_ldexp_f32 v8, v8, v9
	v_cndmask_b32_e32 v8, 0, v8, vcc_lo
	v_cmp_nlt_f32_e32 vcc_lo, 0x42b17218, v7
	v_cndmask_b32_e32 v7, 0x7f800000, v8, vcc_lo
	v_add_f32_e32 v7, 1.0, v7
	v_rcp_f32_e32 v7, v7
	v_fma_f32 v7, v7, -2.0, 1.0
.LBB23_31:                              ;   in Loop: Header=BB23_17 Depth=1
	s_andn2_saveexec_b32 s0, s0
	s_cbranch_execz .LBB23_33
; %bb.32:                               ;   in Loop: Header=BB23_17 Depth=1
	v_mul_f32_e32 v7, v103, v103
	v_fmaak_f32 v8, s18, v7, 0x3ca908c9
	v_fmaak_f32 v8, v7, v8, 0xbd5c1c4e
	;; [unrolled: 1-line block ×4, first 2 shown]
	v_mul_f32_e64 v8, |v103|, v8
	v_fma_f32 v7, v7, v8, |v103|
.LBB23_33:                              ;   in Loop: Header=BB23_17 Depth=1
	s_or_b32 exec_lo, exec_lo, s0
	global_load_ushort v105, v[1:2], off offset:128
	v_cmp_ngt_f32_e64 s0, 0x3f200000, |v104|
                                        ; implicit-def: $vgpr8
	s_and_saveexec_b32 s19, s0
	s_xor_b32 s0, exec_lo, s19
	s_cbranch_execz .LBB23_35
; %bb.34:                               ;   in Loop: Header=BB23_17 Depth=1
	v_add_f32_e64 v8, |v104|, |v104|
	v_mul_f32_e32 v9, 0x3fb8aa3b, v8
	v_cmp_ngt_f32_e32 vcc_lo, 0xc2ce8ed0, v8
	v_rndne_f32_e32 v10, v9
	v_fma_f32 v11, 0x3fb8aa3b, v8, -v9
	v_sub_f32_e32 v9, v9, v10
	v_fmac_f32_e32 v11, 0x32a5705f, v8
	v_cvt_i32_f32_e32 v10, v10
	v_add_f32_e32 v9, v9, v11
	v_exp_f32_e32 v9, v9
	v_ldexp_f32 v9, v9, v10
	v_cndmask_b32_e32 v9, 0, v9, vcc_lo
	v_cmp_nlt_f32_e32 vcc_lo, 0x42b17218, v8
	v_cndmask_b32_e32 v8, 0x7f800000, v9, vcc_lo
	v_add_f32_e32 v8, 1.0, v8
	v_rcp_f32_e32 v8, v8
	v_fma_f32 v8, v8, -2.0, 1.0
.LBB23_35:                              ;   in Loop: Header=BB23_17 Depth=1
	s_andn2_saveexec_b32 s0, s0
	s_cbranch_execz .LBB23_37
; %bb.36:                               ;   in Loop: Header=BB23_17 Depth=1
	v_mul_f32_e32 v8, v104, v104
	v_fmaak_f32 v9, s18, v8, 0x3ca908c9
	v_fmaak_f32 v9, v8, v9, 0xbd5c1c4e
	;; [unrolled: 1-line block ×4, first 2 shown]
	v_mul_f32_e64 v9, |v104|, v9
	v_fma_f32 v8, v8, v9, |v104|
.LBB23_37:                              ;   in Loop: Header=BB23_17 Depth=1
	s_or_b32 exec_lo, exec_lo, s0
	global_load_ushort v106, v[1:2], off offset:192
	v_bfi_b32 v1, 0x7fffffff, v3, v101
	v_bfi_b32 v2, 0x7fffffff, v4, v102
	;; [unrolled: 1-line block ×3, first 2 shown]
	v_xor_b32_e32 v13, 16, v36
	v_xor_b32_e32 v12, 8, v36
	s_waitcnt vmcnt(3)
	v_fma_mix_f32 v15, s15, v1, v5 op_sel_hi:[0,0,1]
	s_waitcnt vmcnt(2)
	v_fma_mix_f32 v101, s15, v2, v6 op_sel_hi:[0,0,1]
	v_bfi_b32 v1, 0x7fffffff, v7, v103
	v_cmp_gt_i32_e32 vcc_lo, 32, v13
	v_xor_b32_e32 v11, 4, v36
	v_add_f32_e32 v2, 0x40051340, v15
	v_add_f32_e32 v4, 0x40051340, v101
	s_waitcnt vmcnt(1)
	v_fma_mix_f32 v102, s15, v1, v105 op_sel_hi:[0,0,1]
	v_cndmask_b32_e32 v1, v36, v13, vcc_lo
	v_cmp_gt_i32_e32 vcc_lo, 32, v12
	v_xor_b32_e32 v10, 2, v36
	v_max3_f32 v2, v89, v2, v4
	v_xor_b32_e32 v9, 1, v36
	v_lshlrev_b32_e32 v1, 2, v1
	v_cmp_ngt_f32_e64 s0, 0x3f200000, |v99|
                                        ; implicit-def: $vgpr8
	s_waitcnt vmcnt(0)
	v_fma_mix_f32 v103, s15, v3, v106 op_sel_hi:[0,0,1]
	v_add_f32_e32 v3, 0x40051340, v102
	v_add_f32_e32 v4, 0x40051340, v103
	v_max3_f32 v2, v2, v3, v4
	v_cndmask_b32_e32 v4, v36, v12, vcc_lo
	v_cmp_gt_i32_e32 vcc_lo, 32, v11
	ds_bpermute_b32 v3, v1, v2
	v_lshlrev_b32_e32 v104, 2, v4
	v_cndmask_b32_e32 v4, v36, v11, vcc_lo
	v_cmp_gt_i32_e32 vcc_lo, 32, v10
	v_lshlrev_b32_e32 v14, 2, v4
	v_cndmask_b32_e32 v4, v36, v10, vcc_lo
	v_cmp_gt_i32_e32 vcc_lo, 32, v9
	v_lshlrev_b32_e32 v7, 2, v4
	v_cndmask_b32_e32 v4, v36, v9, vcc_lo
	v_lshlrev_b32_e32 v4, 2, v4
	s_waitcnt lgkmcnt(0)
	v_max_f32_e32 v3, v3, v3
	v_max_f32_e32 v2, v2, v3
	ds_bpermute_b32 v3, v104, v2
	s_waitcnt lgkmcnt(0)
	v_max_f32_e32 v3, v3, v3
	v_max_f32_e32 v2, v2, v3
	ds_bpermute_b32 v3, v14, v2
	;; [unrolled: 4-line block ×4, first 2 shown]
	s_and_saveexec_b32 s19, s0
	s_xor_b32 s0, exec_lo, s19
	s_cbranch_execz .LBB23_39
; %bb.38:                               ;   in Loop: Header=BB23_17 Depth=1
	v_add_f32_e64 v8, |v99|, |v99|
	v_mul_f32_e32 v16, 0x3fb8aa3b, v8
	v_cmp_ngt_f32_e32 vcc_lo, 0xc2ce8ed0, v8
	v_rndne_f32_e32 v107, v16
	v_fma_f32 v108, 0x3fb8aa3b, v8, -v16
	v_sub_f32_e32 v16, v16, v107
	v_fmac_f32_e32 v108, 0x32a5705f, v8
	v_cvt_i32_f32_e32 v107, v107
	v_add_f32_e32 v16, v16, v108
	v_exp_f32_e32 v16, v16
	v_ldexp_f32 v16, v16, v107
	v_cndmask_b32_e32 v16, 0, v16, vcc_lo
	v_cmp_nlt_f32_e32 vcc_lo, 0x42b17218, v8
	v_cndmask_b32_e32 v8, 0x7f800000, v16, vcc_lo
	v_add_f32_e32 v8, 1.0, v8
	v_rcp_f32_e32 v8, v8
	v_fma_f32 v8, v8, -2.0, 1.0
.LBB23_39:                              ;   in Loop: Header=BB23_17 Depth=1
	s_andn2_saveexec_b32 s0, s0
	s_cbranch_execz .LBB23_41
; %bb.40:                               ;   in Loop: Header=BB23_17 Depth=1
	v_mul_f32_e32 v8, v99, v99
	v_fmaak_f32 v16, s18, v8, 0x3ca908c9
	v_fmaak_f32 v16, v8, v16, 0xbd5c1c4e
	v_fmaak_f32 v16, v8, v16, 0x3e088382
	v_fmaak_f32 v16, v8, v16, 0xbeaaaa99
	v_mul_f32_e64 v16, |v99|, v16
	v_fma_f32 v8, v8, v16, |v99|
.LBB23_41:                              ;   in Loop: Header=BB23_17 Depth=1
	s_or_b32 exec_lo, exec_lo, s0
	v_cmp_ngt_f32_e64 s0, 0x3f200000, |v100|
                                        ; implicit-def: $vgpr107
	s_and_saveexec_b32 s19, s0
	s_xor_b32 s0, exec_lo, s19
	s_cbranch_execz .LBB23_43
; %bb.42:                               ;   in Loop: Header=BB23_17 Depth=1
	v_add_f32_e64 v16, |v100|, |v100|
	v_mul_f32_e32 v107, 0x3fb8aa3b, v16
	v_cmp_ngt_f32_e32 vcc_lo, 0xc2ce8ed0, v16
	v_rndne_f32_e32 v108, v107
	v_fma_f32 v109, 0x3fb8aa3b, v16, -v107
	v_sub_f32_e32 v107, v107, v108
	v_fmac_f32_e32 v109, 0x32a5705f, v16
	v_cvt_i32_f32_e32 v108, v108
	v_add_f32_e32 v107, v107, v109
	v_exp_f32_e32 v107, v107
	v_ldexp_f32 v107, v107, v108
	v_cndmask_b32_e32 v107, 0, v107, vcc_lo
	v_cmp_nlt_f32_e32 vcc_lo, 0x42b17218, v16
	v_cndmask_b32_e32 v16, 0x7f800000, v107, vcc_lo
	v_add_f32_e32 v16, 1.0, v16
	v_rcp_f32_e32 v16, v16
	v_fma_f32 v107, v16, -2.0, 1.0
.LBB23_43:                              ;   in Loop: Header=BB23_17 Depth=1
	s_andn2_saveexec_b32 s0, s0
	s_cbranch_execz .LBB23_45
; %bb.44:                               ;   in Loop: Header=BB23_17 Depth=1
	v_mul_f32_e32 v16, v100, v100
	v_fmaak_f32 v107, s18, v16, 0x3ca908c9
	v_fmaak_f32 v107, v16, v107, 0xbd5c1c4e
	;; [unrolled: 1-line block ×4, first 2 shown]
	v_mul_f32_e64 v107, |v100|, v107
	v_fma_f32 v107, v16, v107, |v100|
.LBB23_45:                              ;   in Loop: Header=BB23_17 Depth=1
	s_or_b32 exec_lo, exec_lo, s0
	v_cmp_ngt_f32_e64 s0, 0x3f200000, |v97|
                                        ; implicit-def: $vgpr108
	s_and_saveexec_b32 s19, s0
	s_xor_b32 s0, exec_lo, s19
	s_cbranch_execz .LBB23_47
; %bb.46:                               ;   in Loop: Header=BB23_17 Depth=1
	v_add_f32_e64 v16, |v97|, |v97|
	v_mul_f32_e32 v108, 0x3fb8aa3b, v16
	v_cmp_ngt_f32_e32 vcc_lo, 0xc2ce8ed0, v16
	v_rndne_f32_e32 v109, v108
	v_fma_f32 v110, 0x3fb8aa3b, v16, -v108
	v_sub_f32_e32 v108, v108, v109
	v_fmac_f32_e32 v110, 0x32a5705f, v16
	v_cvt_i32_f32_e32 v109, v109
	v_add_f32_e32 v108, v108, v110
	v_exp_f32_e32 v108, v108
	v_ldexp_f32 v108, v108, v109
	v_cndmask_b32_e32 v108, 0, v108, vcc_lo
	v_cmp_nlt_f32_e32 vcc_lo, 0x42b17218, v16
	v_cndmask_b32_e32 v16, 0x7f800000, v108, vcc_lo
	v_add_f32_e32 v16, 1.0, v16
	v_rcp_f32_e32 v16, v16
	v_fma_f32 v108, v16, -2.0, 1.0
.LBB23_47:                              ;   in Loop: Header=BB23_17 Depth=1
	s_andn2_saveexec_b32 s0, s0
	s_cbranch_execz .LBB23_49
; %bb.48:                               ;   in Loop: Header=BB23_17 Depth=1
	v_mul_f32_e32 v16, v97, v97
	v_fmaak_f32 v108, s18, v16, 0x3ca908c9
	v_fmaak_f32 v108, v16, v108, 0xbd5c1c4e
	;; [unrolled: 1-line block ×4, first 2 shown]
	v_mul_f32_e64 v108, |v97|, v108
	v_fma_f32 v108, v16, v108, |v97|
.LBB23_49:                              ;   in Loop: Header=BB23_17 Depth=1
	s_or_b32 exec_lo, exec_lo, s0
	v_cmp_ngt_f32_e64 s0, 0x3f200000, |v98|
                                        ; implicit-def: $vgpr109
	s_and_saveexec_b32 s19, s0
	s_xor_b32 s0, exec_lo, s19
	s_cbranch_execz .LBB23_51
; %bb.50:                               ;   in Loop: Header=BB23_17 Depth=1
	v_add_f32_e64 v16, |v98|, |v98|
	v_mul_f32_e32 v109, 0x3fb8aa3b, v16
	v_cmp_ngt_f32_e32 vcc_lo, 0xc2ce8ed0, v16
	v_rndne_f32_e32 v110, v109
	v_fma_f32 v111, 0x3fb8aa3b, v16, -v109
	v_sub_f32_e32 v109, v109, v110
	v_fmac_f32_e32 v111, 0x32a5705f, v16
	v_cvt_i32_f32_e32 v110, v110
	v_add_f32_e32 v109, v109, v111
	v_exp_f32_e32 v109, v109
	v_ldexp_f32 v109, v109, v110
	v_cndmask_b32_e32 v109, 0, v109, vcc_lo
	v_cmp_nlt_f32_e32 vcc_lo, 0x42b17218, v16
	v_cndmask_b32_e32 v16, 0x7f800000, v109, vcc_lo
	v_add_f32_e32 v16, 1.0, v16
	v_rcp_f32_e32 v16, v16
	v_fma_f32 v109, v16, -2.0, 1.0
.LBB23_51:                              ;   in Loop: Header=BB23_17 Depth=1
	s_andn2_saveexec_b32 s0, s0
	s_cbranch_execz .LBB23_53
; %bb.52:                               ;   in Loop: Header=BB23_17 Depth=1
	v_mul_f32_e32 v16, v98, v98
	v_fmaak_f32 v109, s18, v16, 0x3ca908c9
	v_fmaak_f32 v109, v16, v109, 0xbd5c1c4e
	;; [unrolled: 1-line block ×4, first 2 shown]
	v_mul_f32_e64 v109, |v98|, v109
	v_fma_f32 v109, v16, v109, |v98|
.LBB23_53:                              ;   in Loop: Header=BB23_17 Depth=1
	s_or_b32 exec_lo, exec_lo, s0
	v_cvt_f32_f16_e32 v16, v5
	v_bfi_b32 v99, 0x7fffffff, v8, v99
	v_cvt_f32_f16_e32 v8, v6
	v_bfi_b32 v100, 0x7fffffff, v107, v100
	v_cvt_f32_f16_e32 v5, v105
	v_cvt_f32_f16_e32 v6, v106
	v_fma_f32 v99, s15, v99, v16
	v_bfi_b32 v97, 0x7fffffff, v108, v97
	v_fma_f32 v100, s15, v100, v8
	v_bfi_b32 v105, 0x7fffffff, v109, v98
	v_cmp_ngt_f32_e64 s0, 0x3f200000, |v93|
	v_add_f32_e32 v106, 0x40051340, v99
	v_fma_f32 v98, s15, v97, v5
	v_add_f32_e32 v107, 0x40051340, v100
	v_fma_f32 v97, s15, v105, v6
	v_add_f32_e32 v105, 0x40051340, v98
	v_max3_f32 v106, v87, v106, v107
	v_add_f32_e32 v107, 0x40051340, v97
	v_max3_f32 v105, v106, v105, v107
                                        ; implicit-def: $vgpr107
	ds_bpermute_b32 v106, v1, v105
	s_waitcnt lgkmcnt(0)
	v_max_f32_e32 v106, v106, v106
	v_max_f32_e32 v105, v105, v106
	ds_bpermute_b32 v106, v104, v105
	s_waitcnt lgkmcnt(0)
	v_max_f32_e32 v106, v106, v106
	v_max_f32_e32 v105, v105, v106
	;; [unrolled: 4-line block ×4, first 2 shown]
	ds_bpermute_b32 v106, v4, v105
	s_and_saveexec_b32 s19, s0
	s_xor_b32 s0, exec_lo, s19
	s_cbranch_execz .LBB23_55
; %bb.54:                               ;   in Loop: Header=BB23_17 Depth=1
	v_add_f32_e64 v107, |v93|, |v93|
	v_mul_f32_e32 v108, 0x3fb8aa3b, v107
	v_cmp_ngt_f32_e32 vcc_lo, 0xc2ce8ed0, v107
	v_rndne_f32_e32 v109, v108
	v_fma_f32 v110, 0x3fb8aa3b, v107, -v108
	v_sub_f32_e32 v108, v108, v109
	v_fmac_f32_e32 v110, 0x32a5705f, v107
	v_cvt_i32_f32_e32 v109, v109
	v_add_f32_e32 v108, v108, v110
	v_exp_f32_e32 v108, v108
	v_ldexp_f32 v108, v108, v109
	v_cndmask_b32_e32 v108, 0, v108, vcc_lo
	v_cmp_nlt_f32_e32 vcc_lo, 0x42b17218, v107
	v_cndmask_b32_e32 v107, 0x7f800000, v108, vcc_lo
	v_add_f32_e32 v107, 1.0, v107
	v_rcp_f32_e32 v107, v107
	v_fma_f32 v107, v107, -2.0, 1.0
.LBB23_55:                              ;   in Loop: Header=BB23_17 Depth=1
	s_andn2_saveexec_b32 s0, s0
	s_cbranch_execz .LBB23_57
; %bb.56:                               ;   in Loop: Header=BB23_17 Depth=1
	v_mul_f32_e32 v107, v93, v93
	v_fmaak_f32 v108, s18, v107, 0x3ca908c9
	v_fmaak_f32 v108, v107, v108, 0xbd5c1c4e
	;; [unrolled: 1-line block ×4, first 2 shown]
	v_mul_f32_e64 v108, |v93|, v108
	v_fma_f32 v107, v107, v108, |v93|
.LBB23_57:                              ;   in Loop: Header=BB23_17 Depth=1
	s_or_b32 exec_lo, exec_lo, s0
	v_cmp_ngt_f32_e64 s0, 0x3f200000, |v95|
                                        ; implicit-def: $vgpr108
	s_and_saveexec_b32 s19, s0
	s_xor_b32 s0, exec_lo, s19
	s_cbranch_execz .LBB23_59
; %bb.58:                               ;   in Loop: Header=BB23_17 Depth=1
	v_add_f32_e64 v108, |v95|, |v95|
	v_mul_f32_e32 v109, 0x3fb8aa3b, v108
	v_cmp_ngt_f32_e32 vcc_lo, 0xc2ce8ed0, v108
	v_rndne_f32_e32 v110, v109
	v_fma_f32 v111, 0x3fb8aa3b, v108, -v109
	v_sub_f32_e32 v109, v109, v110
	v_fmac_f32_e32 v111, 0x32a5705f, v108
	v_cvt_i32_f32_e32 v110, v110
	v_add_f32_e32 v109, v109, v111
	v_exp_f32_e32 v109, v109
	v_ldexp_f32 v109, v109, v110
	v_cndmask_b32_e32 v109, 0, v109, vcc_lo
	v_cmp_nlt_f32_e32 vcc_lo, 0x42b17218, v108
	v_cndmask_b32_e32 v108, 0x7f800000, v109, vcc_lo
	v_add_f32_e32 v108, 1.0, v108
	v_rcp_f32_e32 v108, v108
	v_fma_f32 v108, v108, -2.0, 1.0
.LBB23_59:                              ;   in Loop: Header=BB23_17 Depth=1
	s_andn2_saveexec_b32 s0, s0
	s_cbranch_execz .LBB23_61
; %bb.60:                               ;   in Loop: Header=BB23_17 Depth=1
	v_mul_f32_e32 v108, v95, v95
	v_fmaak_f32 v109, s18, v108, 0x3ca908c9
	v_fmaak_f32 v109, v108, v109, 0xbd5c1c4e
	;; [unrolled: 1-line block ×4, first 2 shown]
	v_mul_f32_e64 v109, |v95|, v109
	v_fma_f32 v108, v108, v109, |v95|
.LBB23_61:                              ;   in Loop: Header=BB23_17 Depth=1
	s_or_b32 exec_lo, exec_lo, s0
	v_cmp_ngt_f32_e64 s0, 0x3f200000, |v96|
                                        ; implicit-def: $vgpr109
	s_and_saveexec_b32 s19, s0
	s_xor_b32 s0, exec_lo, s19
	s_cbranch_execz .LBB23_63
; %bb.62:                               ;   in Loop: Header=BB23_17 Depth=1
	v_add_f32_e64 v109, |v96|, |v96|
	v_mul_f32_e32 v110, 0x3fb8aa3b, v109
	v_cmp_ngt_f32_e32 vcc_lo, 0xc2ce8ed0, v109
	v_rndne_f32_e32 v111, v110
	v_fma_f32 v112, 0x3fb8aa3b, v109, -v110
	v_sub_f32_e32 v110, v110, v111
	v_fmac_f32_e32 v112, 0x32a5705f, v109
	v_cvt_i32_f32_e32 v111, v111
	v_add_f32_e32 v110, v110, v112
	v_exp_f32_e32 v110, v110
	v_ldexp_f32 v110, v110, v111
	v_cndmask_b32_e32 v110, 0, v110, vcc_lo
	v_cmp_nlt_f32_e32 vcc_lo, 0x42b17218, v109
	v_cndmask_b32_e32 v109, 0x7f800000, v110, vcc_lo
	v_add_f32_e32 v109, 1.0, v109
	v_rcp_f32_e32 v109, v109
	v_fma_f32 v109, v109, -2.0, 1.0
.LBB23_63:                              ;   in Loop: Header=BB23_17 Depth=1
	s_andn2_saveexec_b32 s0, s0
	s_cbranch_execz .LBB23_65
; %bb.64:                               ;   in Loop: Header=BB23_17 Depth=1
	v_mul_f32_e32 v109, v96, v96
	v_fmaak_f32 v110, s18, v109, 0x3ca908c9
	v_fmaak_f32 v110, v109, v110, 0xbd5c1c4e
	;; [unrolled: 1-line block ×4, first 2 shown]
	v_mul_f32_e64 v110, |v96|, v110
	v_fma_f32 v109, v109, v110, |v96|
.LBB23_65:                              ;   in Loop: Header=BB23_17 Depth=1
	s_or_b32 exec_lo, exec_lo, s0
	v_cmp_ngt_f32_e64 s0, 0x3f200000, |v94|
                                        ; implicit-def: $vgpr110
	s_and_saveexec_b32 s19, s0
	s_xor_b32 s0, exec_lo, s19
	s_cbranch_execz .LBB23_67
; %bb.66:                               ;   in Loop: Header=BB23_17 Depth=1
	v_add_f32_e64 v110, |v94|, |v94|
	v_mul_f32_e32 v111, 0x3fb8aa3b, v110
	v_cmp_ngt_f32_e32 vcc_lo, 0xc2ce8ed0, v110
	v_rndne_f32_e32 v112, v111
	v_fma_f32 v113, 0x3fb8aa3b, v110, -v111
	v_sub_f32_e32 v111, v111, v112
	v_fmac_f32_e32 v113, 0x32a5705f, v110
	v_cvt_i32_f32_e32 v112, v112
	v_add_f32_e32 v111, v111, v113
	v_exp_f32_e32 v111, v111
	v_ldexp_f32 v111, v111, v112
	v_cndmask_b32_e32 v111, 0, v111, vcc_lo
	v_cmp_nlt_f32_e32 vcc_lo, 0x42b17218, v110
	v_cndmask_b32_e32 v110, 0x7f800000, v111, vcc_lo
	v_add_f32_e32 v110, 1.0, v110
	v_rcp_f32_e32 v110, v110
	v_fma_f32 v110, v110, -2.0, 1.0
.LBB23_67:                              ;   in Loop: Header=BB23_17 Depth=1
	s_andn2_saveexec_b32 s0, s0
	s_cbranch_execz .LBB23_69
; %bb.68:                               ;   in Loop: Header=BB23_17 Depth=1
	v_mul_f32_e32 v110, v94, v94
	v_fmaak_f32 v111, s18, v110, 0x3ca908c9
	v_fmaak_f32 v111, v110, v111, 0xbd5c1c4e
	;; [unrolled: 1-line block ×4, first 2 shown]
	v_mul_f32_e64 v111, |v94|, v111
	v_fma_f32 v110, v110, v111, |v94|
.LBB23_69:                              ;   in Loop: Header=BB23_17 Depth=1
	s_or_b32 exec_lo, exec_lo, s0
	v_bfi_b32 v93, 0x7fffffff, v107, v93
	v_bfi_b32 v95, 0x7fffffff, v108, v95
	;; [unrolled: 1-line block ×3, first 2 shown]
	v_cmp_ngt_f32_e64 s0, 0x3f200000, |v91|
	v_fma_f32 v96, s15, v93, v16
	v_fma_f32 v95, s15, v95, v8
	v_bfi_b32 v93, 0x7fffffff, v110, v94
	v_fma_f32 v94, s15, v107, v5
	v_add_f32_e32 v107, 0x40051340, v96
	v_add_f32_e32 v108, 0x40051340, v95
	v_fma_f32 v93, s15, v93, v6
	v_add_f32_e32 v109, 0x40051340, v94
	v_max3_f32 v107, v85, v107, v108
	v_add_f32_e32 v108, 0x40051340, v93
	v_max3_f32 v107, v107, v109, v108
                                        ; implicit-def: $vgpr109
	ds_bpermute_b32 v108, v1, v107
	s_waitcnt lgkmcnt(0)
	v_max_f32_e32 v108, v108, v108
	v_max_f32_e32 v107, v107, v108
	ds_bpermute_b32 v108, v104, v107
	s_waitcnt lgkmcnt(0)
	v_max_f32_e32 v108, v108, v108
	v_max_f32_e32 v107, v107, v108
	;; [unrolled: 4-line block ×4, first 2 shown]
	ds_bpermute_b32 v108, v4, v107
	s_and_saveexec_b32 s19, s0
	s_xor_b32 s0, exec_lo, s19
	s_cbranch_execz .LBB23_71
; %bb.70:                               ;   in Loop: Header=BB23_17 Depth=1
	v_add_f32_e64 v109, |v91|, |v91|
	v_mul_f32_e32 v110, 0x3fb8aa3b, v109
	v_cmp_ngt_f32_e32 vcc_lo, 0xc2ce8ed0, v109
	v_rndne_f32_e32 v111, v110
	v_fma_f32 v112, 0x3fb8aa3b, v109, -v110
	v_sub_f32_e32 v110, v110, v111
	v_fmac_f32_e32 v112, 0x32a5705f, v109
	v_cvt_i32_f32_e32 v111, v111
	v_add_f32_e32 v110, v110, v112
	v_exp_f32_e32 v110, v110
	v_ldexp_f32 v110, v110, v111
	v_cndmask_b32_e32 v110, 0, v110, vcc_lo
	v_cmp_nlt_f32_e32 vcc_lo, 0x42b17218, v109
	v_cndmask_b32_e32 v109, 0x7f800000, v110, vcc_lo
	v_add_f32_e32 v109, 1.0, v109
	v_rcp_f32_e32 v109, v109
	v_fma_f32 v109, v109, -2.0, 1.0
.LBB23_71:                              ;   in Loop: Header=BB23_17 Depth=1
	s_andn2_saveexec_b32 s0, s0
	s_cbranch_execz .LBB23_73
; %bb.72:                               ;   in Loop: Header=BB23_17 Depth=1
	v_mul_f32_e32 v109, v91, v91
	v_fmaak_f32 v110, s18, v109, 0x3ca908c9
	v_fmaak_f32 v110, v109, v110, 0xbd5c1c4e
	;; [unrolled: 1-line block ×4, first 2 shown]
	v_mul_f32_e64 v110, |v91|, v110
	v_fma_f32 v109, v109, v110, |v91|
.LBB23_73:                              ;   in Loop: Header=BB23_17 Depth=1
	s_or_b32 exec_lo, exec_lo, s0
	v_cmp_ngt_f32_e64 s0, 0x3f200000, |v92|
                                        ; implicit-def: $vgpr110
	s_and_saveexec_b32 s19, s0
	s_xor_b32 s0, exec_lo, s19
	s_cbranch_execz .LBB23_75
; %bb.74:                               ;   in Loop: Header=BB23_17 Depth=1
	v_add_f32_e64 v110, |v92|, |v92|
	v_mul_f32_e32 v111, 0x3fb8aa3b, v110
	v_cmp_ngt_f32_e32 vcc_lo, 0xc2ce8ed0, v110
	v_rndne_f32_e32 v112, v111
	v_fma_f32 v113, 0x3fb8aa3b, v110, -v111
	v_sub_f32_e32 v111, v111, v112
	v_fmac_f32_e32 v113, 0x32a5705f, v110
	v_cvt_i32_f32_e32 v112, v112
	v_add_f32_e32 v111, v111, v113
	v_exp_f32_e32 v111, v111
	v_ldexp_f32 v111, v111, v112
	v_cndmask_b32_e32 v111, 0, v111, vcc_lo
	v_cmp_nlt_f32_e32 vcc_lo, 0x42b17218, v110
	v_cndmask_b32_e32 v110, 0x7f800000, v111, vcc_lo
	v_add_f32_e32 v110, 1.0, v110
	v_rcp_f32_e32 v110, v110
	v_fma_f32 v110, v110, -2.0, 1.0
.LBB23_75:                              ;   in Loop: Header=BB23_17 Depth=1
	s_andn2_saveexec_b32 s0, s0
	s_cbranch_execz .LBB23_77
; %bb.76:                               ;   in Loop: Header=BB23_17 Depth=1
	v_mul_f32_e32 v110, v92, v92
	v_fmaak_f32 v111, s18, v110, 0x3ca908c9
	v_fmaak_f32 v111, v110, v111, 0xbd5c1c4e
	;; [unrolled: 1-line block ×4, first 2 shown]
	v_mul_f32_e64 v111, |v92|, v111
	v_fma_f32 v110, v110, v111, |v92|
.LBB23_77:                              ;   in Loop: Header=BB23_17 Depth=1
	s_or_b32 exec_lo, exec_lo, s0
	v_cmp_ngt_f32_e64 s0, 0x3f200000, |v90|
                                        ; implicit-def: $vgpr111
	s_and_saveexec_b32 s19, s0
	s_xor_b32 s0, exec_lo, s19
	s_cbranch_execz .LBB23_79
; %bb.78:                               ;   in Loop: Header=BB23_17 Depth=1
	v_add_f32_e64 v111, |v90|, |v90|
	v_mul_f32_e32 v112, 0x3fb8aa3b, v111
	v_cmp_ngt_f32_e32 vcc_lo, 0xc2ce8ed0, v111
	v_rndne_f32_e32 v113, v112
	v_fma_f32 v114, 0x3fb8aa3b, v111, -v112
	v_sub_f32_e32 v112, v112, v113
	v_fmac_f32_e32 v114, 0x32a5705f, v111
	v_cvt_i32_f32_e32 v113, v113
	v_add_f32_e32 v112, v112, v114
	v_exp_f32_e32 v112, v112
	v_ldexp_f32 v112, v112, v113
	v_cndmask_b32_e32 v112, 0, v112, vcc_lo
	v_cmp_nlt_f32_e32 vcc_lo, 0x42b17218, v111
	v_cndmask_b32_e32 v111, 0x7f800000, v112, vcc_lo
	v_add_f32_e32 v111, 1.0, v111
	v_rcp_f32_e32 v111, v111
	v_fma_f32 v111, v111, -2.0, 1.0
.LBB23_79:                              ;   in Loop: Header=BB23_17 Depth=1
	s_andn2_saveexec_b32 s0, s0
	s_cbranch_execz .LBB23_81
; %bb.80:                               ;   in Loop: Header=BB23_17 Depth=1
	v_mul_f32_e32 v111, v90, v90
	v_fmaak_f32 v112, s18, v111, 0x3ca908c9
	v_fmaak_f32 v112, v111, v112, 0xbd5c1c4e
	;; [unrolled: 1-line block ×4, first 2 shown]
	v_mul_f32_e64 v112, |v90|, v112
	v_fma_f32 v111, v111, v112, |v90|
.LBB23_81:                              ;   in Loop: Header=BB23_17 Depth=1
	s_or_b32 exec_lo, exec_lo, s0
	v_cmp_ngt_f32_e64 s0, 0x3f200000, |v81|
                                        ; implicit-def: $vgpr112
	s_and_saveexec_b32 s19, s0
	s_xor_b32 s0, exec_lo, s19
	s_cbranch_execz .LBB23_83
; %bb.82:                               ;   in Loop: Header=BB23_17 Depth=1
	v_add_f32_e64 v112, |v81|, |v81|
	v_mul_f32_e32 v113, 0x3fb8aa3b, v112
	v_cmp_ngt_f32_e32 vcc_lo, 0xc2ce8ed0, v112
	v_rndne_f32_e32 v114, v113
	v_fma_f32 v115, 0x3fb8aa3b, v112, -v113
	v_sub_f32_e32 v113, v113, v114
	v_fmac_f32_e32 v115, 0x32a5705f, v112
	v_cvt_i32_f32_e32 v114, v114
	v_add_f32_e32 v113, v113, v115
	v_exp_f32_e32 v113, v113
	v_ldexp_f32 v113, v113, v114
	v_cndmask_b32_e32 v113, 0, v113, vcc_lo
	v_cmp_nlt_f32_e32 vcc_lo, 0x42b17218, v112
	v_cndmask_b32_e32 v112, 0x7f800000, v113, vcc_lo
	v_add_f32_e32 v112, 1.0, v112
	v_rcp_f32_e32 v112, v112
	v_fma_f32 v112, v112, -2.0, 1.0
.LBB23_83:                              ;   in Loop: Header=BB23_17 Depth=1
	s_andn2_saveexec_b32 s0, s0
	s_cbranch_execz .LBB23_85
; %bb.84:                               ;   in Loop: Header=BB23_17 Depth=1
	v_mul_f32_e32 v112, v81, v81
	v_fmaak_f32 v113, s18, v112, 0x3ca908c9
	v_fmaak_f32 v113, v112, v113, 0xbd5c1c4e
	;; [unrolled: 1-line block ×4, first 2 shown]
	v_mul_f32_e64 v113, |v81|, v113
	v_fma_f32 v112, v112, v113, |v81|
.LBB23_85:                              ;   in Loop: Header=BB23_17 Depth=1
	s_or_b32 exec_lo, exec_lo, s0
	v_bfi_b32 v91, 0x7fffffff, v109, v91
	v_bfi_b32 v92, 0x7fffffff, v110, v92
	;; [unrolled: 1-line block ×4, first 2 shown]
	v_max_f32_e32 v109, v3, v3
	v_fmac_f32_e32 v16, s15, v91
	v_fmac_f32_e32 v8, s15, v92
	;; [unrolled: 1-line block ×4, first 2 shown]
	s_waitcnt lgkmcnt(0)
	v_max_f32_e32 v91, v108, v108
	v_add_f32_e32 v81, 0x40051340, v16
	v_add_f32_e32 v90, 0x40051340, v8
	v_max_f32_e32 v92, v107, v107
	v_add_f32_e32 v107, 0x40051340, v5
	v_add_f32_e32 v108, 0x40051340, v6
	v_max_f32_e32 v110, v2, v2
	v_max3_f32 v81, v83, v81, v90
	s_mul_hi_i32 s25, s8, s9
	s_mul_i32 s24, s8, s9
	v_max_f32_e32 v106, v106, v106
	s_lshl_b64 s[24:25], s[24:25], 2
	v_max3_f32 v81, v81, v107, v108
	v_max_f32_e32 v105, v105, v105
	s_add_u32 s0, s12, s24
	v_lshlrev_b32_e32 v90, 2, v32
	v_max_f32_e32 v3, v92, v91
	ds_bpermute_b32 v107, v1, v81
	v_max_f32_e32 v1, v110, v109
	s_addc_u32 s19, s13, s25
	v_add_co_u32 v91, vcc_lo, s0, v27
	v_max_f32_e32 v2, v105, v106
	v_sub_f32_e32 v114, v101, v1
	v_add_co_ci_u32_e64 v92, null, s19, v28, vcc_lo
	v_add_co_u32 v105, vcc_lo, s0, v29
	v_add_co_ci_u32_e64 v106, null, s19, v30, vcc_lo
	v_add_co_u32 v91, vcc_lo, v91, v90
	;; [unrolled: 2-line block ×3, first 2 shown]
	v_add_co_ci_u32_e64 v111, null, 0, v106, vcc_lo
	s_waitcnt lgkmcnt(0)
	v_max_f32_e32 v101, v107, v107
	s_barrier
	buffer_gl0_inv
	v_sub_f32_e32 v115, v102, v1
	v_max_f32_e32 v81, v81, v101
	v_sub_f32_e32 v116, v103, v1
	v_sub_f32_e32 v117, v99, v2
	;; [unrolled: 1-line block ×4, first 2 shown]
	ds_bpermute_b32 v120, v104, v81
	s_clause 0x3
	global_load_dwordx4 v[98:101], v[91:92], off
	global_load_dwordx4 v[102:105], v[91:92], off offset:512
	global_load_dwordx4 v[106:109], v[110:111], off
	global_load_dwordx4 v[110:113], v[110:111], off offset:512
	v_sub_f32_e32 v15, v15, v1
	v_mul_f32_e32 v122, 0x3fb8aa3b, v114
	v_sub_f32_e32 v89, v89, v1
	v_mul_f32_e32 v123, 0x3fb8aa3b, v115
	v_mul_f32_e32 v124, 0x3fb8aa3b, v116
	;; [unrolled: 1-line block ×3, first 2 shown]
	v_fma_f32 v129, 0x3fb8aa3b, v114, -v122
	v_rndne_f32_e32 v130, v122
	v_mul_f32_e32 v125, 0x3fb8aa3b, v89
	v_fma_f32 v131, 0x3fb8aa3b, v115, -v123
	v_fma_f32 v91, 0x3fb8aa3b, v15, -v121
	v_rndne_f32_e32 v92, v121
	v_rndne_f32_e32 v132, v123
	v_fmac_f32_e32 v129, 0x32a5705f, v114
	v_sub_f32_e32 v122, v122, v130
	v_fmac_f32_e32 v91, 0x32a5705f, v15
	v_sub_f32_e32 v121, v121, v92
	v_fma_f32 v134, 0x3fb8aa3b, v89, -v125
	s_waitcnt lgkmcnt(0)
	v_max_f32_e32 v120, v120, v120
	v_rndne_f32_e32 v135, v125
	v_fmac_f32_e32 v131, 0x32a5705f, v115
	v_add_f32_e32 v91, v121, v91
	v_sub_f32_e32 v123, v123, v132
	v_max_f32_e32 v81, v81, v120
	v_add_f32_e32 v121, v122, v129
	v_cvt_i32_f32_e32 v92, v92
	v_exp_f32_e32 v91, v91
	v_fmac_f32_e32 v134, 0x32a5705f, v89
	ds_bpermute_b32 v14, v14, v81
	v_sub_f32_e32 v125, v125, v135
	v_add_f32_e32 v122, v123, v131
	v_exp_f32_e32 v121, v121
	v_cvt_i32_f32_e32 v130, v130
	v_cmp_ngt_f32_e32 vcc_lo, 0xc2ce8ed0, v15
	v_cvt_i32_f32_e32 v132, v132
	v_exp_f32_e32 v122, v122
	v_ldexp_f32 v91, v91, v92
	v_fma_f32 v133, 0x3fb8aa3b, v116, -v124
	v_rndne_f32_e32 v120, v124
	v_mul_f32_e32 v126, 0x3fb8aa3b, v117
	v_mul_f32_e32 v127, 0x3fb8aa3b, v118
	v_ldexp_f32 v92, v121, v130
	v_cndmask_b32_e32 v91, 0, v91, vcc_lo
	v_cmp_ngt_f32_e32 vcc_lo, 0xc2ce8ed0, v114
	v_fmac_f32_e32 v133, 0x32a5705f, v116
	v_ldexp_f32 v121, v122, v132
	v_sub_f32_e32 v124, v124, v120
	v_cvt_i32_f32_e32 v120, v120
	s_waitcnt lgkmcnt(0)
	v_max_f32_e32 v14, v14, v14
	v_cndmask_b32_e32 v92, 0, v92, vcc_lo
	v_cmp_ngt_f32_e32 vcc_lo, 0xc2ce8ed0, v115
	v_add_f32_e32 v123, v124, v133
	v_fma_f32 v136, 0x3fb8aa3b, v117, -v126
	v_max_f32_e32 v14, v81, v14
	v_add_f32_e32 v81, v125, v134
	v_cvt_i32_f32_e32 v125, v135
	v_cndmask_b32_e32 v121, 0, v121, vcc_lo
	v_cmp_ngt_f32_e32 vcc_lo, 0xc2ce8ed0, v89
	ds_bpermute_b32 v7, v7, v14
	v_exp_f32_e32 v81, v81
	v_exp_f32_e32 v123, v123
	v_rndne_f32_e32 v137, v126
	v_fma_f32 v138, 0x3fb8aa3b, v118, -v127
	v_rndne_f32_e32 v139, v127
	v_fmac_f32_e32 v136, 0x32a5705f, v117
	v_mul_f32_e32 v128, 0x3fb8aa3b, v119
	v_sub_f32_e32 v126, v126, v137
	v_fmac_f32_e32 v138, 0x32a5705f, v118
	v_sub_f32_e32 v127, v127, v139
	v_ldexp_f32 v81, v81, v125
	v_ldexp_f32 v120, v123, v120
	v_add_f32_e32 v124, v126, v136
	v_cvt_i32_f32_e32 v126, v137
	v_sub_f32_e32 v95, v95, v3
	v_cndmask_b32_e32 v81, 0, v81, vcc_lo
	v_cmp_nlt_f32_e32 vcc_lo, 0x42b17218, v15
	v_exp_f32_e32 v124, v124
	s_or_b32 s0, s8, 16
	s_waitcnt lgkmcnt(0)
	v_max_f32_e32 v7, v7, v7
	s_mul_hi_i32 s25, s0, s9
	v_cndmask_b32_e32 v15, 0x7f800000, v91, vcc_lo
	v_cmp_nlt_f32_e32 vcc_lo, 0x42b17218, v114
	s_mul_i32 s24, s0, s9
	v_max_f32_e32 v7, v14, v7
	s_lshl_b64 s[24:25], s[24:25], 2
	v_cndmask_b32_e32 v14, 0x7f800000, v92, vcc_lo
	v_cmp_nlt_f32_e32 vcc_lo, 0x42b17218, v89
	ds_bpermute_b32 v4, v4, v7
	s_add_u32 s0, s12, s24
	s_addc_u32 s19, s13, s25
	v_add_f32_e32 v92, v15, v14
	v_cndmask_b32_e32 v81, 0x7f800000, v81, vcc_lo
	v_cmp_ngt_f32_e32 vcc_lo, 0xc2ce8ed0, v116
	v_cvt_f16_f32_e32 v114, v81
	v_cndmask_b32_e32 v89, 0, v120, vcc_lo
	v_cmp_nlt_f32_e32 vcc_lo, 0x42b17218, v115
	v_cvt_f16_f32_e32 v115, v15
	v_cndmask_b32_e32 v91, 0x7f800000, v121, vcc_lo
	v_cmp_nlt_f32_e32 vcc_lo, 0x42b17218, v116
	s_waitcnt lgkmcnt(0)
	v_max_f32_e32 v4, v4, v4
	v_add_f32_e32 v15, v91, v92
	v_cndmask_b32_e32 v89, 0x7f800000, v89, vcc_lo
	v_mul_u32_u24_sdwa v92, v114, v48 dst_sel:DWORD dst_unused:UNUSED_PAD src0_sel:WORD_0 src1_sel:DWORD
	v_cvt_f16_f32_e32 v114, v14
	v_max_f32_e32 v4, v7, v4
	v_add_f32_e32 v7, v127, v138
	v_add_f32_e32 v14, v89, v15
	v_pk_mul_f16 v125, v74, v92
	v_fma_f32 v15, 0x3fb8aa3b, v119, -v128
	v_rndne_f32_e32 v74, v128
	v_pk_mul_f16 v122, v77, v92
	v_pk_mul_f16 v129, v75, v92
	v_sub_f32_e32 v75, v87, v2
	v_exp_f32_e32 v7, v7
	v_fmac_f32_e32 v15, 0x32a5705f, v119
	v_sub_f32_e32 v77, v128, v74
	v_cvt_f16_f32_e32 v116, v89
	v_pk_mul_f16 v89, v79, v92
	v_pk_mul_f16 v120, v76, v92
	;; [unrolled: 1-line block ×3, first 2 shown]
	v_ldexp_f32 v76, v124, v126
	v_cmp_ngt_f32_e32 vcc_lo, 0xc2ce8ed0, v117
	v_cvt_i32_f32_e32 v78, v139
	v_sub_f32_e32 v79, v97, v2
	v_add_f32_e32 v15, v77, v15
	v_mul_f32_e32 v77, 0x3fb8aa3b, v75
	v_pk_mul_f16 v121, v80, v92
	v_fmac_f32_e32 v14, v88, v81
	v_cndmask_b32_e32 v76, 0, v76, vcc_lo
	v_cmp_nlt_f32_e32 vcc_lo, 0x42b17218, v117
	v_mul_f32_e32 v80, 0x3fb8aa3b, v79
	v_ldexp_f32 v7, v7, v78
	v_fma_f32 v78, 0x3fb8aa3b, v75, -v77
	v_rndne_f32_e32 v81, v77
	v_cndmask_b32_e32 v76, 0x7f800000, v76, vcc_lo
	v_exp_f32_e32 v15, v15
	v_fma_f32 v87, 0x3fb8aa3b, v79, -v80
	v_rndne_f32_e32 v88, v80
	v_fmac_f32_e32 v78, 0x32a5705f, v75
	v_sub_f32_e32 v77, v77, v81
	v_cmp_ngt_f32_e32 vcc_lo, 0xc2ce8ed0, v118
	v_cvt_i32_f32_e32 v74, v74
	v_fmac_f32_e32 v87, 0x32a5705f, v79
	v_sub_f32_e32 v80, v80, v88
	v_add_f32_e32 v77, v77, v78
	v_cndmask_b32_e32 v7, 0, v7, vcc_lo
	v_cmp_nlt_f32_e32 vcc_lo, 0x42b17218, v118
	v_ldexp_f32 v15, v15, v74
	v_add_f32_e32 v74, v80, v87
	v_exp_f32_e32 v77, v77
	v_cvt_i32_f32_e32 v80, v81
	v_cndmask_b32_e32 v7, 0x7f800000, v7, vcc_lo
	v_cmp_ngt_f32_e32 vcc_lo, 0xc2ce8ed0, v119
	v_exp_f32_e32 v74, v74
	v_cvt_i32_f32_e32 v81, v88
	v_sub_f32_e32 v8, v8, v4
	v_add_f32_e32 v78, v76, v7
	v_cndmask_b32_e32 v15, 0, v15, vcc_lo
	v_cmp_nlt_f32_e32 vcc_lo, 0x42b17218, v119
	v_ldexp_f32 v77, v77, v80
	v_sub_f32_e32 v80, v96, v3
	v_sub_f32_e32 v5, v5, v4
	v_sub_f32_e32 v6, v6, v4
	v_cndmask_b32_e32 v15, 0x7f800000, v15, vcc_lo
	v_cmp_ngt_f32_e32 vcc_lo, 0xc2ce8ed0, v75
	v_ldexp_f32 v74, v74, v81
	v_cvt_f16_f32_e32 v76, v76
	v_cvt_f16_f32_e32 v7, v7
	v_add_f32_e32 v78, v15, v78
	v_cndmask_b32_e32 v77, 0, v77, vcc_lo
	v_cmp_ngt_f32_e32 vcc_lo, 0xc2ce8ed0, v79
	v_cvt_f16_f32_e32 v81, v15
	v_cvt_f16_f32_e32 v91, v91
	v_pack_b32_f16 v7, v114, v7
	v_cndmask_b32_e32 v74, 0, v74, vcc_lo
	v_cmp_nlt_f32_e32 vcc_lo, 0x42b17218, v75
	v_cndmask_b32_e32 v75, 0x7f800000, v77, vcc_lo
	v_mul_f32_e32 v77, 0x3fb8aa3b, v80
	v_cmp_nlt_f32_e32 vcc_lo, 0x42b17218, v79
	v_cvt_f16_f32_e32 v79, v75
	v_fma_f32 v87, 0x3fb8aa3b, v80, -v77
	v_cndmask_b32_e32 v74, 0x7f800000, v74, vcc_lo
	v_rndne_f32_e32 v88, v77
	v_cmp_ngt_f32_e32 vcc_lo, 0xc2ce8ed0, v80
	v_mul_u32_u24_sdwa v96, v79, v48 dst_sel:DWORD dst_unused:UNUSED_PAD src0_sel:WORD_0 src1_sel:DWORD
	v_fmac_f32_e32 v87, 0x32a5705f, v80
	v_add_f32_e32 v15, v74, v78
	v_sub_f32_e32 v77, v77, v88
	v_mul_f32_e32 v78, 0x3fb8aa3b, v95
	v_pk_mul_f16 v97, v72, v96
	v_pk_mul_f16 v117, v71, v96
	v_fmac_f32_e32 v15, v86, v75
	v_pk_mul_f16 v86, v73, v96
	v_add_f32_e32 v73, v77, v87
	v_fma_f32 v75, 0x3fb8aa3b, v95, -v78
	v_rndne_f32_e32 v77, v78
	v_pk_mul_f16 v87, v70, v96
	v_cvt_f16_f32_e32 v74, v74
	v_exp_f32_e32 v70, v73
	v_fmac_f32_e32 v75, 0x32a5705f, v95
	v_sub_f32_e32 v72, v78, v77
	v_sub_f32_e32 v73, v94, v3
	v_pk_mul_f16 v94, v69, v96
	v_cvt_i32_f32_e32 v69, v88
	v_pk_mul_f16 v88, v67, v96
	v_add_f32_e32 v71, v72, v75
	v_mul_f32_e32 v72, 0x3fb8aa3b, v73
	v_sub_f32_e32 v67, v85, v3
	v_ldexp_f32 v69, v70, v69
	v_cvt_i32_f32_e32 v77, v77
	v_exp_f32_e32 v70, v71
	v_fma_f32 v71, 0x3fb8aa3b, v73, -v72
	v_rndne_f32_e32 v75, v72
	v_cndmask_b32_e32 v69, 0, v69, vcc_lo
	v_sub_f32_e32 v78, v93, v3
	v_cmp_nlt_f32_e32 vcc_lo, 0x42b17218, v80
	v_fmac_f32_e32 v71, 0x32a5705f, v73
	v_sub_f32_e32 v72, v72, v75
	v_cvt_i32_f32_e32 v75, v75
	v_ldexp_f32 v70, v70, v77
	v_mul_f32_e32 v77, 0x3fb8aa3b, v67
	v_add_f32_e32 v71, v72, v71
	v_cndmask_b32_e32 v69, 0x7f800000, v69, vcc_lo
	v_mul_f32_e32 v72, 0x3fb8aa3b, v78
	v_cmp_ngt_f32_e32 vcc_lo, 0xc2ce8ed0, v95
	v_fma_f32 v85, 0x3fb8aa3b, v67, -v77
	v_exp_f32_e32 v71, v71
	v_rndne_f32_e32 v93, v77
	v_fma_f32 v79, 0x3fb8aa3b, v78, -v72
	v_cndmask_b32_e32 v70, 0, v70, vcc_lo
	v_rndne_f32_e32 v80, v72
	v_fmac_f32_e32 v85, 0x32a5705f, v67
	v_sub_f32_e32 v77, v77, v93
	v_cmp_nlt_f32_e32 vcc_lo, 0x42b17218, v95
	v_fmac_f32_e32 v79, 0x32a5705f, v78
	v_sub_f32_e32 v72, v72, v80
	v_pk_mul_f16 v95, v66, v96
	v_ldexp_f32 v66, v71, v75
	v_cndmask_b32_e32 v70, 0x7f800000, v70, vcc_lo
	v_add_f32_e32 v71, v77, v85
	v_cmp_ngt_f32_e32 vcc_lo, 0xc2ce8ed0, v73
	v_add_f32_e32 v72, v72, v79
	v_sub_f32_e32 v77, v16, v4
	v_add_f32_e32 v75, v69, v70
	v_exp_f32_e32 v71, v71
	v_cndmask_b32_e32 v66, 0, v66, vcc_lo
	v_cmp_nlt_f32_e32 vcc_lo, 0x42b17218, v73
	v_exp_f32_e32 v72, v72
	v_cvt_i32_f32_e32 v73, v80
	v_mul_f32_e32 v79, 0x3fb8aa3b, v77
	v_cvt_f16_f32_e32 v69, v69
	v_cndmask_b32_e32 v16, 0x7f800000, v66, vcc_lo
	v_cvt_i32_f32_e32 v66, v93
	v_cmp_ngt_f32_e32 vcc_lo, 0xc2ce8ed0, v67
	v_cvt_f16_f32_e32 v70, v70
	v_add_f32_e32 v75, v16, v75
	v_ldexp_f32 v66, v71, v66
	v_ldexp_f32 v71, v72, v73
	v_fma_f32 v72, 0x3fb8aa3b, v77, -v79
	v_rndne_f32_e32 v73, v79
	v_cndmask_b32_e32 v66, 0, v66, vcc_lo
	v_cmp_ngt_f32_e32 vcc_lo, 0xc2ce8ed0, v78
	v_fmac_f32_e32 v72, 0x32a5705f, v77
	v_sub_f32_e32 v79, v79, v73
	v_cndmask_b32_e32 v71, 0, v71, vcc_lo
	v_cmp_nlt_f32_e32 vcc_lo, 0x42b17218, v67
	v_cndmask_b32_e32 v66, 0x7f800000, v66, vcc_lo
	v_cmp_nlt_f32_e32 vcc_lo, 0x42b17218, v78
	v_cvt_f16_f32_e32 v78, v16
	v_cndmask_b32_e32 v67, 0x7f800000, v71, vcc_lo
	v_add_f32_e32 v71, v79, v72
	v_cvt_f16_f32_e32 v72, v66
	v_cmp_ngt_f32_e32 vcc_lo, 0xc2ce8ed0, v77
	v_add_f32_e32 v16, v67, v75
	v_exp_f32_e32 v71, v71
	v_mul_u32_u24_sdwa v85, v72, v48 dst_sel:DWORD dst_unused:UNUSED_PAD src0_sel:WORD_0 src1_sel:DWORD
	v_mul_f32_e32 v72, 0x3fb8aa3b, v8
	v_mul_f32_e32 v75, 0x3fb8aa3b, v6
	v_fmac_f32_e32 v16, v84, v66
	v_cvt_i32_f32_e32 v66, v73
	v_pk_mul_f16 v84, v64, v85
	v_pk_mul_f16 v93, v63, v85
	v_fma_f32 v64, 0x3fb8aa3b, v8, -v72
	v_fma_f32 v79, 0x3fb8aa3b, v6, -v75
	v_ldexp_f32 v63, v71, v66
	v_rndne_f32_e32 v66, v72
	v_rndne_f32_e32 v80, v75
	v_fmac_f32_e32 v64, 0x32a5705f, v8
	v_fmac_f32_e32 v79, 0x32a5705f, v6
	v_cndmask_b32_e32 v63, 0, v63, vcc_lo
	v_sub_f32_e32 v71, v72, v66
	v_mul_f32_e32 v72, 0x3fb8aa3b, v5
	v_cmp_nlt_f32_e32 vcc_lo, 0x42b17218, v77
	v_sub_f32_e32 v75, v75, v80
	v_cvt_i32_f32_e32 v66, v66
	v_add_f32_e32 v64, v71, v64
	v_fma_f32 v71, 0x3fb8aa3b, v5, -v72
	v_rndne_f32_e32 v77, v72
	v_sub_f32_e32 v73, v83, v4
	v_cndmask_b32_e32 v63, 0x7f800000, v63, vcc_lo
	v_exp_f32_e32 v64, v64
	v_fmac_f32_e32 v71, 0x32a5705f, v5
	v_sub_f32_e32 v72, v72, v77
	v_cmp_ngt_f32_e32 vcc_lo, 0xc2ce8ed0, v8
	v_mul_f32_e32 v83, 0x3fb8aa3b, v73
	v_cvt_i32_f32_e32 v77, v77
	v_cvt_i32_f32_e32 v80, v80
	v_add_f32_e32 v71, v72, v71
	v_add_f32_e32 v72, v75, v79
	v_fma_f32 v75, 0x3fb8aa3b, v73, -v83
	v_ldexp_f32 v64, v64, v66
	v_rndne_f32_e32 v79, v83
	v_exp_f32_e32 v71, v71
	v_exp_f32_e32 v66, v72
	v_fmac_f32_e32 v75, 0x32a5705f, v73
	v_cndmask_b32_e32 v64, 0, v64, vcc_lo
	v_cmp_nlt_f32_e32 vcc_lo, 0x42b17218, v8
	v_sub_f32_e32 v72, v83, v79
	v_cvt_f16_f32_e32 v118, v63
	v_cvt_f16_f32_e32 v67, v67
	v_pk_mul_f16 v62, v62, v85
	v_cndmask_b32_e32 v8, 0x7f800000, v64, vcc_lo
	v_ldexp_f32 v71, v71, v77
	v_cmp_ngt_f32_e32 vcc_lo, 0xc2ce8ed0, v5
	v_ldexp_f32 v64, v66, v80
	v_add_f32_e32 v72, v72, v75
	v_add_f32_e32 v77, v63, v8
	v_cvt_f16_f32_e32 v8, v8
	v_cndmask_b32_e32 v71, 0, v71, vcc_lo
	v_cmp_ngt_f32_e32 vcc_lo, 0xc2ce8ed0, v6
	v_exp_f32_e32 v66, v72
	v_cvt_i32_f32_e32 v72, v79
	v_add_nc_u32_e32 v79, v42, v33
	v_pack_b32_f16 v8, v70, v8
	v_cndmask_b32_e32 v64, 0, v64, vcc_lo
	v_cmp_nlt_f32_e32 vcc_lo, 0x42b17218, v5
	v_pk_mul_f16 v61, v61, v85
	v_cndmask_b32_e32 v71, 0x7f800000, v71, vcc_lo
	v_cmp_nlt_f32_e32 vcc_lo, 0x42b17218, v6
	v_ldexp_f32 v5, v66, v72
	v_pack_b32_f16 v6, v69, v118
	v_cvt_f16_f32_e32 v63, v71
	v_cndmask_b32_e32 v75, 0x7f800000, v64, vcc_lo
	v_cmp_ngt_f32_e32 vcc_lo, 0xc2ce8ed0, v73
	v_pack_b32_f16 v64, v78, v63
	v_cvt_f16_f32_e32 v66, v75
	v_cndmask_b32_e32 v72, 0, v5, vcc_lo
	v_pack_b32_f16 v5, v115, v76
	v_cmp_nlt_f32_e32 vcc_lo, 0x42b17218, v73
	v_pack_b32_f16 v63, v91, v81
	v_pack_b32_f16 v67, v67, v66
	;; [unrolled: 1-line block ×3, first 2 shown]
	v_add_f32_e32 v74, v71, v77
	v_cndmask_b32_e32 v77, 0x7f800000, v72, vcc_lo
	ds_write2_b64 v79, v[5:6], v[7:8] offset1:32
	ds_write2_b64 v79, v[63:64], v[66:67] offset0:64 offset1:96
	s_waitcnt vmcnt(3)
	ds_write_b128 v43, v[98:101]
	s_waitcnt vmcnt(2)
	ds_write_b128 v44, v[102:105]
	;; [unrolled: 2-line block ×4, first 2 shown]
	s_waitcnt lgkmcnt(0)
	s_barrier
	buffer_gl0_inv
	v_add_nc_u32_e32 v63, 0x9000, v33
	ds_read_b128 v[69:72], v42
	v_cvt_f16_f32_e32 v5, v77
	v_add_f32_e32 v81, v75, v74
	v_pk_mul_f16 v66, v57, v85
	ds_read2_b64 v[73:76], v63 offset1:32
	v_pk_mul_f16 v67, v58, v85
	v_mul_u32_u24_sdwa v5, v5, v48 dst_sel:DWORD dst_unused:UNUSED_PAD src0_sel:WORD_0 src1_sel:DWORD
	v_fmac_f32_e32 v81, v82, v77
	v_pk_mul_f16 v64, v60, v85
	v_pk_mul_f16 v57, v54, v5
	;; [unrolled: 1-line block ×5, first 2 shown]
	ds_read2_b64 v[53:56], v63 offset0:64 offset1:96
	v_pk_mul_f16 v60, v51, v5
	v_pk_mul_f16 v83, v52, v5
	;; [unrolled: 1-line block ×4, first 2 shown]
	ds_read_b128 v[49:52], v42 offset:16
	s_waitcnt lgkmcnt(3)
	v_mul_u32_u24_sdwa v100, v69, v48 dst_sel:DWORD dst_unused:UNUSED_PAD src0_sel:WORD_0 src1_sel:DWORD
	v_mul_u32_u24_sdwa v69, v69, v48 dst_sel:DWORD dst_unused:UNUSED_PAD src0_sel:WORD_1 src1_sel:DWORD
	v_mul_u32_u24_sdwa v101, v70, v48 dst_sel:DWORD dst_unused:UNUSED_PAD src0_sel:WORD_0 src1_sel:DWORD
	v_mul_u32_u24_sdwa v70, v70, v48 dst_sel:DWORD dst_unused:UNUSED_PAD src0_sel:WORD_1 src1_sel:DWORD
	ds_read_b128 v[77:80], v42 offset:32
	ds_read_b128 v[5:8], v42 offset:48
	s_waitcnt lgkmcnt(4)
	v_pk_mul_f16 v102, v73, v100
	v_pk_mul_f16 v103, v73, v69
	v_pk_mul_f16 v104, v73, v101
	v_pk_fma_f16 v73, v73, v70, v57
	v_pk_fma_f16 v89, v74, v100, v89
	;; [unrolled: 1-line block ×12, first 2 shown]
	ds_read2_b64 v[57:60], v63 offset0:128 offset1:160
	v_pk_fma_f16 v97, v76, v69, v97
	s_waitcnt lgkmcnt(4)
	v_pk_fma_f16 v94, v53, v69, v94
	v_pk_fma_f16 v103, v53, v101, v64
	;; [unrolled: 1-line block ×7, first 2 shown]
	ds_read2_b64 v[64:67], v63 offset0:192 offset1:224
	v_pk_fma_f16 v102, v76, v100, v121
	v_pk_fma_f16 v62, v76, v101, v62
	;; [unrolled: 1-line block ×6, first 2 shown]
	v_mul_u32_u24_sdwa v101, v71, v48 dst_sel:DWORD dst_unused:UNUSED_PAD src0_sel:WORD_0 src1_sel:DWORD
	v_mul_u32_u24_sdwa v71, v71, v48 dst_sel:DWORD dst_unused:UNUSED_PAD src0_sel:WORD_1 src1_sel:DWORD
	v_mul_u32_u24_sdwa v108, v72, v48 dst_sel:DWORD dst_unused:UNUSED_PAD src0_sel:WORD_0 src1_sel:DWORD
	v_mul_u32_u24_sdwa v72, v72, v48 dst_sel:DWORD dst_unused:UNUSED_PAD src0_sel:WORD_1 src1_sel:DWORD
	v_add_nc_u32_e32 v53, 0x9800, v33
	v_pk_fma_f16 v104, v54, v100, v123
	v_pk_fma_f16 v91, v54, v70, v91
	;; [unrolled: 1-line block ×6, first 2 shown]
	s_waitcnt lgkmcnt(1)
	v_pk_fma_f16 v68, v57, v101, v68
	v_pk_fma_f16 v92, v57, v71, v92
	;; [unrolled: 1-line block ×4, first 2 shown]
	ds_read2_b64 v[54:57], v53 offset1:32
	v_pk_fma_f16 v89, v58, v101, v89
	v_pk_fma_f16 v86, v58, v71, v86
	;; [unrolled: 1-line block ×12, first 2 shown]
	s_waitcnt lgkmcnt(1)
	v_pk_fma_f16 v82, v64, v101, v82
	v_pk_fma_f16 v94, v64, v71, v94
	;; [unrolled: 1-line block ×6, first 2 shown]
	ds_read2_b64 v[58:61], v53 offset0:64 offset1:96
	v_pk_fma_f16 v103, v65, v71, v105
	v_pk_fma_f16 v65, v65, v72, v91
	;; [unrolled: 1-line block ×9, first 2 shown]
	v_mul_u32_u24_sdwa v95, v49, v48 dst_sel:DWORD dst_unused:UNUSED_PAD src0_sel:WORD_0 src1_sel:DWORD
	v_mul_u32_u24_sdwa v49, v49, v48 dst_sel:DWORD dst_unused:UNUSED_PAD src0_sel:WORD_1 src1_sel:DWORD
	v_mul_u32_u24_sdwa v100, v50, v48 dst_sel:DWORD dst_unused:UNUSED_PAD src0_sel:WORD_0 src1_sel:DWORD
	v_mul_u32_u24_sdwa v50, v50, v48 dst_sel:DWORD dst_unused:UNUSED_PAD src0_sel:WORD_1 src1_sel:DWORD
	v_pk_fma_f16 v70, v67, v72, v70
	s_waitcnt lgkmcnt(1)
	v_pk_fma_f16 v68, v54, v95, v68
	v_pk_fma_f16 v72, v54, v49, v92
	;; [unrolled: 1-line block ×16, first 2 shown]
	ds_read2_b64 v[54:57], v53 offset0:128 offset1:160
	s_waitcnt lgkmcnt(1)
	v_pk_fma_f16 v82, v58, v95, v82
	v_pk_fma_f16 v94, v58, v49, v94
	;; [unrolled: 1-line block ×12, first 2 shown]
	ds_read2_b64 v[64:67], v53 offset0:192 offset1:224
	v_pk_fma_f16 v95, v61, v95, v98
	v_pk_fma_f16 v71, v61, v100, v71
	v_mul_u32_u24_sdwa v98, v51, v48 dst_sel:DWORD dst_unused:UNUSED_PAD src0_sel:WORD_0 src1_sel:DWORD
	v_mul_u32_u24_sdwa v100, v51, v48 dst_sel:DWORD dst_unused:UNUSED_PAD src0_sel:WORD_1 src1_sel:DWORD
	v_mul_u32_u24_sdwa v104, v52, v48 dst_sel:DWORD dst_unused:UNUSED_PAD src0_sel:WORD_0 src1_sel:DWORD
	v_mul_u32_u24_sdwa v105, v52, v48 dst_sel:DWORD dst_unused:UNUSED_PAD src0_sel:WORD_1 src1_sel:DWORD
	v_pk_fma_f16 v69, v61, v49, v69
	v_pk_fma_f16 v61, v61, v50, v70
	s_waitcnt lgkmcnt(1)
	v_pk_fma_f16 v68, v54, v98, v68
	v_pk_fma_f16 v70, v54, v100, v72
	;; [unrolled: 1-line block ×4, first 2 shown]
	v_add_nc_u32_e32 v54, 0xa000, v33
	v_pk_fma_f16 v85, v55, v98, v89
	v_pk_fma_f16 v86, v55, v100, v86
	v_pk_fma_f16 v84, v55, v104, v84
	v_pk_fma_f16 v74, v55, v105, v74
	v_pk_fma_f16 v89, v56, v98, v92
	v_pk_fma_f16 v87, v56, v100, v87
	v_pk_fma_f16 v92, v56, v104, v93
	v_pk_fma_f16 v75, v56, v105, v75
	v_pk_fma_f16 v93, v57, v98, v96
	v_pk_fma_f16 v96, v57, v100, v97
	v_pk_fma_f16 v62, v57, v104, v62
	v_pk_fma_f16 v76, v57, v105, v76
	s_waitcnt lgkmcnt(0)
	v_pk_fma_f16 v82, v64, v98, v82
	v_pk_fma_f16 v94, v64, v100, v94
	ds_read2_b64 v[49:52], v54 offset1:32
	v_pk_fma_f16 v97, v64, v104, v99
	v_pk_fma_f16 v64, v64, v105, v58
	ds_read2_b64 v[55:58], v54 offset0:64 offset1:96
	v_pk_fma_f16 v83, v65, v98, v83
	v_pk_fma_f16 v99, v65, v100, v101
	;; [unrolled: 1-line block ×9, first 2 shown]
	v_mul_u32_u24_sdwa v95, v77, v48 dst_sel:DWORD dst_unused:UNUSED_PAD src0_sel:WORD_0 src1_sel:DWORD
	v_mul_u32_u24_sdwa v77, v77, v48 dst_sel:DWORD dst_unused:UNUSED_PAD src0_sel:WORD_1 src1_sel:DWORD
	v_mul_u32_u24_sdwa v98, v78, v48 dst_sel:DWORD dst_unused:UNUSED_PAD src0_sel:WORD_0 src1_sel:DWORD
	v_mul_u32_u24_sdwa v78, v78, v48 dst_sel:DWORD dst_unused:UNUSED_PAD src0_sel:WORD_1 src1_sel:DWORD
	v_pk_fma_f16 v69, v67, v100, v69
	v_pk_fma_f16 v71, v67, v104, v71
	;; [unrolled: 1-line block ×3, first 2 shown]
	s_waitcnt lgkmcnt(1)
	v_pk_fma_f16 v100, v52, v98, v62
	v_pk_fma_f16 v68, v49, v95, v68
	;; [unrolled: 1-line block ×3, first 2 shown]
	s_waitcnt lgkmcnt(0)
	v_pk_fma_f16 v83, v56, v95, v83
	v_pk_fma_f16 v99, v56, v77, v99
	;; [unrolled: 1-line block ×8, first 2 shown]
	ds_read2_b64 v[59:62], v54 offset0:192 offset1:224
	v_pk_fma_f16 v72, v49, v98, v72
	v_pk_fma_f16 v73, v49, v78, v73
	;; [unrolled: 1-line block ×13, first 2 shown]
	ds_read2_b64 v[49:52], v54 offset0:128 offset1:160
	v_pk_fma_f16 v82, v55, v95, v82
	v_pk_fma_f16 v94, v55, v77, v94
	;; [unrolled: 1-line block ×6, first 2 shown]
	v_mul_u32_u24_sdwa v77, v79, v48 dst_sel:DWORD dst_unused:UNUSED_PAD src0_sel:WORD_0 src1_sel:DWORD
	v_mul_u32_u24_sdwa v79, v79, v48 dst_sel:DWORD dst_unused:UNUSED_PAD src0_sel:WORD_1 src1_sel:DWORD
	v_mul_u32_u24_sdwa v95, v80, v48 dst_sel:DWORD dst_unused:UNUSED_PAD src0_sel:WORD_0 src1_sel:DWORD
	v_mul_u32_u24_sdwa v80, v80, v48 dst_sel:DWORD dst_unused:UNUSED_PAD src0_sel:WORD_1 src1_sel:DWORD
	v_add_nc_u32_e32 v55, 0xa800, v33
	v_pk_fma_f16 v71, v58, v98, v71
	v_pk_fma_f16 v67, v58, v78, v67
	s_waitcnt lgkmcnt(1)
	v_pk_fma_f16 v82, v59, v77, v82
	v_pk_fma_f16 v94, v59, v79, v94
	v_pk_fma_f16 v97, v59, v95, v97
	v_pk_fma_f16 v64, v59, v80, v64
	v_pk_fma_f16 v83, v60, v77, v83
	v_pk_fma_f16 v98, v60, v79, v99
	v_pk_fma_f16 v99, v60, v95, v101
	v_pk_fma_f16 v60, v60, v80, v56
	v_pk_fma_f16 v171, v61, v77, v65
	v_pk_fma_f16 v172, v61, v79, v88
	v_pk_fma_f16 v173, v61, v95, v91
	v_pk_fma_f16 v61, v61, v80, v57
	ds_read2_b64 v[56:59], v55 offset0:64 offset1:96
	s_waitcnt lgkmcnt(1)
	v_pk_fma_f16 v68, v49, v77, v68
	v_pk_fma_f16 v70, v49, v79, v70
	;; [unrolled: 1-line block ×16, first 2 shown]
	ds_read2_b64 v[49:52], v55 offset1:32
	v_mul_u32_u24_sdwa v177, v5, v48 dst_sel:DWORD dst_unused:UNUSED_PAD src0_sel:WORD_0 src1_sel:DWORD
	v_mul_u32_u24_sdwa v178, v5, v48 dst_sel:DWORD dst_unused:UNUSED_PAD src0_sel:WORD_1 src1_sel:DWORD
	v_mul_u32_u24_sdwa v179, v6, v48 dst_sel:DWORD dst_unused:UNUSED_PAD src0_sel:WORD_0 src1_sel:DWORD
	v_mul_u32_u24_sdwa v180, v6, v48 dst_sel:DWORD dst_unused:UNUSED_PAD src0_sel:WORD_1 src1_sel:DWORD
	v_add_co_u32 v5, vcc_lo, s0, v27
	s_waitcnt lgkmcnt(1)
	v_pk_fma_f16 v196, v56, v177, v82
	v_pk_fma_f16 v197, v56, v178, v94
	;; [unrolled: 1-line block ×4, first 2 shown]
	v_add_co_ci_u32_e64 v6, null, s19, v28, vcc_lo
	v_add_co_u32 v56, vcc_lo, s0, v29
	v_pk_fma_f16 v200, v57, v177, v83
	v_pk_fma_f16 v201, v57, v178, v98
	;; [unrolled: 1-line block ×4, first 2 shown]
	v_add_co_ci_u32_e64 v57, null, s19, v30, vcc_lo
	v_add_co_u32 v5, vcc_lo, v5, v90
	v_pk_fma_f16 v174, v62, v77, v66
	v_pk_fma_f16 v175, v62, v79, v69
	;; [unrolled: 1-line block ×4, first 2 shown]
	s_waitcnt lgkmcnt(0)
	v_pk_fma_f16 v80, v49, v177, v68
	v_pk_fma_f16 v181, v49, v178, v70
	;; [unrolled: 1-line block ×12, first 2 shown]
	v_add_nc_u32_e32 v52, 0xb000, v33
	v_add_nc_u32_e32 v50, 0xc000, v33
	;; [unrolled: 1-line block ×3, first 2 shown]
	v_add_co_ci_u32_e64 v6, null, 0, v6, vcc_lo
	v_add_co_u32 v56, vcc_lo, v56, v90
	v_pk_fma_f16 v188, v51, v177, v86
	v_pk_fma_f16 v189, v51, v178, v87
	;; [unrolled: 1-line block ×4, first 2 shown]
	v_add_nc_u32_e32 v51, 0xb800, v33
	v_add_co_ci_u32_e64 v57, null, 0, v57, vcc_lo
	ds_read2_b64 v[64:67], v55 offset0:128 offset1:160
	ds_read2_b64 v[68:71], v55 offset0:192 offset1:224
	ds_read2_b64 v[72:75], v52 offset1:32
	ds_read2_b64 v[76:79], v52 offset0:64 offset1:96
	ds_read2_b64 v[82:85], v52 offset0:128 offset1:160
	;; [unrolled: 1-line block ×3, first 2 shown]
	ds_read2_b64 v[91:94], v51 offset1:32
	ds_read2_b64 v[95:98], v51 offset0:64 offset1:96
	ds_read_b128 v[99:102], v42 offset:64
	ds_read_b128 v[103:106], v42 offset:80
	ds_read2_b64 v[107:110], v51 offset0:128 offset1:160
	ds_read2_b64 v[111:114], v51 offset0:192 offset1:224
	ds_read2_b64 v[115:118], v50 offset1:32
	ds_read2_b64 v[119:122], v50 offset0:64 offset1:96
	ds_read2_b64 v[123:126], v50 offset0:128 offset1:160
	ds_read2_b64 v[127:130], v50 offset0:192 offset1:224
	ds_read2_b64 v[131:134], v49 offset1:32
	ds_read2_b64 v[135:138], v49 offset0:64 offset1:96
	ds_read_b128 v[139:142], v42 offset:96
	ds_read_b128 v[143:146], v42 offset:112
	ds_read2_b64 v[147:150], v49 offset0:128 offset1:160
	ds_read2_b64 v[151:154], v49 offset0:192 offset1:224
	s_waitcnt lgkmcnt(0)
	s_barrier
	buffer_gl0_inv
	s_clause 0x3
	global_load_dwordx4 v[155:158], v[5:6], off
	global_load_dwordx4 v[159:162], v[5:6], off offset:512
	global_load_dwordx4 v[163:166], v[56:57], off
	global_load_dwordx4 v[167:170], v[56:57], off offset:512
	v_pk_fma_f16 v5, v58, v177, v171
	v_pk_fma_f16 v6, v58, v178, v172
	v_pk_fma_f16 v56, v58, v179, v173
	v_pk_fma_f16 v57, v58, v180, v61
	v_pk_fma_f16 v58, v59, v177, v174
	v_pk_fma_f16 v61, v59, v178, v175
	v_pk_fma_f16 v171, v59, v179, v176
	v_mul_u32_u24_sdwa v172, v7, v48 dst_sel:DWORD dst_unused:UNUSED_PAD src0_sel:WORD_0 src1_sel:DWORD
	v_mul_u32_u24_sdwa v7, v7, v48 dst_sel:DWORD dst_unused:UNUSED_PAD src0_sel:WORD_1 src1_sel:DWORD
	v_mul_u32_u24_sdwa v173, v8, v48 dst_sel:DWORD dst_unused:UNUSED_PAD src0_sel:WORD_0 src1_sel:DWORD
	v_mul_u32_u24_sdwa v8, v8, v48 dst_sel:DWORD dst_unused:UNUSED_PAD src0_sel:WORD_1 src1_sel:DWORD
	v_pk_fma_f16 v59, v59, v180, v62
	v_pk_fma_f16 v62, v64, v172, v80
	v_pk_fma_f16 v80, v64, v7, v181
	v_pk_fma_f16 v174, v64, v173, v182
	v_pk_fma_f16 v64, v64, v8, v183
	v_pk_fma_f16 v175, v65, v172, v184
	v_pk_fma_f16 v176, v65, v7, v185
	v_pk_fma_f16 v177, v65, v173, v186
	v_pk_fma_f16 v65, v65, v8, v187
	v_pk_fma_f16 v178, v66, v172, v188
	v_pk_fma_f16 v179, v66, v7, v189
	v_pk_fma_f16 v180, v66, v173, v190
	v_pk_fma_f16 v66, v66, v8, v191
	v_pk_fma_f16 v181, v67, v172, v192
	v_pk_fma_f16 v182, v67, v7, v193
	v_pk_fma_f16 v183, v67, v173, v194
	v_pk_fma_f16 v67, v67, v8, v195
	v_pk_fma_f16 v184, v68, v172, v196
	v_pk_fma_f16 v185, v68, v7, v197
	v_pk_fma_f16 v186, v68, v173, v198
	v_pk_fma_f16 v68, v68, v8, v199
	v_pk_fma_f16 v187, v69, v172, v200
	v_pk_fma_f16 v188, v69, v7, v201
	v_pk_fma_f16 v189, v69, v173, v202
	v_pk_fma_f16 v60, v69, v8, v60
	v_pk_fma_f16 v5, v70, v172, v5
	v_pk_fma_f16 v6, v70, v7, v6
	v_pk_fma_f16 v56, v70, v173, v56
	v_pk_fma_f16 v57, v70, v8, v57
	v_pk_fma_f16 v58, v71, v172, v58
	v_pk_fma_f16 v7, v71, v7, v61
	v_pk_fma_f16 v61, v71, v173, v171
	v_mul_u32_u24_sdwa v69, v99, v48 dst_sel:DWORD dst_unused:UNUSED_PAD src0_sel:WORD_0 src1_sel:DWORD
	v_mul_u32_u24_sdwa v70, v99, v48 dst_sel:DWORD dst_unused:UNUSED_PAD src0_sel:WORD_1 src1_sel:DWORD
	v_mul_u32_u24_sdwa v99, v100, v48 dst_sel:DWORD dst_unused:UNUSED_PAD src0_sel:WORD_0 src1_sel:DWORD
	v_mul_u32_u24_sdwa v100, v100, v48 dst_sel:DWORD dst_unused:UNUSED_PAD src0_sel:WORD_1 src1_sel:DWORD
	v_pk_fma_f16 v8, v71, v8, v59
	v_pk_fma_f16 v59, v72, v69, v62
	v_pk_fma_f16 v62, v72, v70, v80
	v_pk_fma_f16 v71, v72, v99, v174
	v_pk_fma_f16 v64, v72, v100, v64
	v_pk_fma_f16 v72, v73, v69, v175
	v_pk_fma_f16 v80, v73, v70, v176
	v_pk_fma_f16 v171, v73, v99, v177
	v_pk_fma_f16 v65, v73, v100, v65
	v_pk_fma_f16 v73, v74, v69, v178
	v_pk_fma_f16 v172, v74, v70, v179
	v_pk_fma_f16 v173, v74, v99, v180
	v_pk_fma_f16 v66, v74, v100, v66
	v_pk_fma_f16 v74, v75, v69, v181
	v_pk_fma_f16 v174, v75, v70, v182
	v_pk_fma_f16 v175, v75, v99, v183
	v_pk_fma_f16 v67, v75, v100, v67
	v_pk_fma_f16 v75, v76, v69, v184
	v_pk_fma_f16 v176, v76, v70, v185
	v_pk_fma_f16 v177, v76, v99, v186
	v_pk_fma_f16 v68, v76, v100, v68
	v_pk_fma_f16 v76, v77, v69, v187
	v_pk_fma_f16 v178, v77, v70, v188
	v_pk_fma_f16 v179, v77, v99, v189
	v_pk_fma_f16 v60, v77, v100, v60
	;; [unrolled: 36-line block ×3, first 2 shown]
	v_pk_fma_f16 v6, v88, v70, v6
	v_pk_fma_f16 v56, v88, v77, v56
	;; [unrolled: 1-line block ×5, first 2 shown]
	v_mul_u32_u24_sdwa v69, v103, v48 dst_sel:DWORD dst_unused:UNUSED_PAD src0_sel:WORD_0 src1_sel:DWORD
	v_mul_u32_u24_sdwa v70, v103, v48 dst_sel:DWORD dst_unused:UNUSED_PAD src0_sel:WORD_1 src1_sel:DWORD
	v_mul_u32_u24_sdwa v77, v104, v48 dst_sel:DWORD dst_unused:UNUSED_PAD src0_sel:WORD_0 src1_sel:DWORD
	v_pk_fma_f16 v60, v87, v78, v60
	v_pk_fma_f16 v57, v88, v78, v57
	v_mul_u32_u24_sdwa v87, v104, v48 dst_sel:DWORD dst_unused:UNUSED_PAD src0_sel:WORD_1 src1_sel:DWORD
	v_pk_fma_f16 v8, v89, v78, v8
	v_pk_fma_f16 v59, v91, v69, v59
	;; [unrolled: 1-line block ×19, first 2 shown]
	v_mul_u32_u24_sdwa v69, v105, v48 dst_sel:DWORD dst_unused:UNUSED_PAD src0_sel:WORD_0 src1_sel:DWORD
	v_mul_u32_u24_sdwa v70, v105, v48 dst_sel:DWORD dst_unused:UNUSED_PAD src0_sel:WORD_1 src1_sel:DWORD
	v_pk_fma_f16 v71, v91, v77, v71
	v_pk_fma_f16 v64, v91, v87, v64
	v_pk_fma_f16 v65, v92, v87, v65
	v_pk_fma_f16 v66, v93, v87, v66
	v_pk_fma_f16 v84, v94, v77, v99
	v_pk_fma_f16 v67, v94, v87, v67
	v_pk_fma_f16 v88, v95, v77, v100
	v_pk_fma_f16 v68, v95, v87, v68
	v_pk_fma_f16 v89, v96, v77, v101
	v_pk_fma_f16 v60, v96, v87, v60
	v_pk_fma_f16 v56, v97, v77, v56
	v_pk_fma_f16 v57, v97, v87, v57
	v_pk_fma_f16 v61, v98, v77, v61
	v_mul_u32_u24_sdwa v77, v106, v48 dst_sel:DWORD dst_unused:UNUSED_PAD src0_sel:WORD_0 src1_sel:DWORD
	v_mul_u32_u24_sdwa v91, v106, v48 dst_sel:DWORD dst_unused:UNUSED_PAD src0_sel:WORD_1 src1_sel:DWORD
	v_pk_fma_f16 v8, v98, v87, v8
	v_pk_fma_f16 v59, v107, v69, v59
	v_pk_fma_f16 v62, v107, v70, v62
	v_pk_fma_f16 v72, v108, v69, v72
	v_pk_fma_f16 v78, v108, v70, v78
	v_pk_fma_f16 v73, v109, v69, v73
	v_pk_fma_f16 v80, v109, v70, v80
	v_pk_fma_f16 v74, v110, v69, v74
	v_pk_fma_f16 v83, v110, v70, v83
	v_pk_fma_f16 v75, v111, v69, v75
	v_pk_fma_f16 v85, v111, v70, v85
	v_pk_fma_f16 v76, v112, v69, v76
	v_pk_fma_f16 v86, v112, v70, v86
	v_pk_fma_f16 v5, v113, v69, v5
	v_pk_fma_f16 v6, v113, v70, v6
	v_pk_fma_f16 v58, v114, v69, v58
	v_pk_fma_f16 v7, v114, v70, v7
	v_mul_u32_u24_sdwa v69, v139, v48 dst_sel:DWORD dst_unused:UNUSED_PAD src0_sel:WORD_0 src1_sel:DWORD
	v_mul_u32_u24_sdwa v70, v139, v48 dst_sel:DWORD dst_unused:UNUSED_PAD src0_sel:WORD_1 src1_sel:DWORD
	v_pk_fma_f16 v71, v107, v77, v71
	v_pk_fma_f16 v64, v107, v91, v64
	v_pk_fma_f16 v79, v108, v77, v79
	v_pk_fma_f16 v65, v108, v91, v65
	v_pk_fma_f16 v82, v109, v77, v82
	v_pk_fma_f16 v66, v109, v91, v66
	v_pk_fma_f16 v84, v110, v77, v84
	v_pk_fma_f16 v67, v110, v91, v67
	v_pk_fma_f16 v87, v111, v77, v88
	v_pk_fma_f16 v68, v111, v91, v68
	v_pk_fma_f16 v88, v112, v77, v89
	v_pk_fma_f16 v60, v112, v91, v60
	v_pk_fma_f16 v56, v113, v77, v56
	v_pk_fma_f16 v57, v113, v91, v57
	v_pk_fma_f16 v61, v114, v77, v61
	v_mul_u32_u24_sdwa v77, v140, v48 dst_sel:DWORD dst_unused:UNUSED_PAD src0_sel:WORD_0 src1_sel:DWORD
	v_mul_u32_u24_sdwa v89, v140, v48 dst_sel:DWORD dst_unused:UNUSED_PAD src0_sel:WORD_1 src1_sel:DWORD
	v_pk_fma_f16 v8, v114, v91, v8
	v_pk_fma_f16 v59, v115, v69, v59
	v_pk_fma_f16 v62, v115, v70, v62
	v_pk_fma_f16 v72, v116, v69, v72
	v_pk_fma_f16 v78, v116, v70, v78
	v_pk_fma_f16 v73, v117, v69, v73
	v_pk_fma_f16 v80, v117, v70, v80
	v_pk_fma_f16 v74, v118, v69, v74
	v_pk_fma_f16 v83, v118, v70, v83
	v_pk_fma_f16 v75, v119, v69, v75
	v_pk_fma_f16 v85, v119, v70, v85
	v_pk_fma_f16 v76, v120, v69, v76
	v_pk_fma_f16 v86, v120, v70, v86
	v_pk_fma_f16 v5, v121, v69, v5
	v_pk_fma_f16 v6, v121, v70, v6
	v_pk_fma_f16 v58, v122, v69, v58
	v_pk_fma_f16 v7, v122, v70, v7
	v_mul_u32_u24_sdwa v69, v141, v48 dst_sel:DWORD dst_unused:UNUSED_PAD src0_sel:WORD_0 src1_sel:DWORD
	v_mul_u32_u24_sdwa v70, v141, v48 dst_sel:DWORD dst_unused:UNUSED_PAD src0_sel:WORD_1 src1_sel:DWORD
	v_pk_fma_f16 v71, v115, v77, v71
	v_pk_fma_f16 v64, v115, v89, v64
	;; [unrolled: 36-line block ×3, first 2 shown]
	v_pk_fma_f16 v79, v124, v77, v79
	v_pk_fma_f16 v65, v124, v91, v65
	;; [unrolled: 1-line block ×13, first 2 shown]
	v_mul_u32_u24_sdwa v77, v144, v48 dst_sel:DWORD dst_unused:UNUSED_PAD src0_sel:WORD_0 src1_sel:DWORD
	v_mul_u32_u24_sdwa v89, v144, v48 dst_sel:DWORD dst_unused:UNUSED_PAD src0_sel:WORD_1 src1_sel:DWORD
	v_pk_fma_f16 v8, v130, v91, v8
	v_pk_fma_f16 v59, v131, v69, v59
	;; [unrolled: 1-line block ×10, first 2 shown]
	v_mul_u32_u24_sdwa v70, v145, v48 dst_sel:DWORD dst_unused:UNUSED_PAD src0_sel:WORD_0 src1_sel:DWORD
	v_pk_fma_f16 v64, v131, v89, v64
	v_pk_fma_f16 v72, v132, v69, v72
	;; [unrolled: 1-line block ×15, first 2 shown]
	v_mul_u32_u24_sdwa v94, v146, v48 dst_sel:DWORD dst_unused:UNUSED_PAD src0_sel:WORD_1 src1_sel:DWORD
	v_pk_fma_f16 v8, v138, v89, v8
	v_pk_fma_f16 v89, v147, v70, v59
	s_waitcnt vmcnt(3)
	ds_write_b128 v43, v[155:158]
	s_waitcnt vmcnt(2)
	ds_write_b128 v44, v[159:162]
	;; [unrolled: 2-line block ×4, first 2 shown]
	s_waitcnt lgkmcnt(0)
	s_barrier
	buffer_gl0_inv
	ds_read_b128 v[56:59], v42 offset:128
	v_pk_fma_f16 v96, v147, v94, v64
	v_pk_fma_f16 v100, v148, v94, v65
	;; [unrolled: 1-line block ×4, first 2 shown]
	ds_read2_b64 v[64:67], v63 offset1:32
	v_pk_fma_f16 v71, v131, v77, v71
	v_pk_fma_f16 v79, v132, v77, v79
	;; [unrolled: 1-line block ×7, first 2 shown]
	v_mul_u32_u24_sdwa v77, v145, v48 dst_sel:DWORD dst_unused:UNUSED_PAD src0_sel:WORD_1 src1_sel:DWORD
	v_mul_u32_u24_sdwa v93, v146, v48 dst_sel:DWORD dst_unused:UNUSED_PAD src0_sel:WORD_0 src1_sel:DWORD
	v_pk_fma_f16 v97, v148, v70, v72
	v_pk_fma_f16 v101, v149, v70, v73
	;; [unrolled: 1-line block ×19, first 2 shown]
	s_waitcnt lgkmcnt(1)
	v_mul_u32_u24_sdwa v94, v56, v48 dst_sel:DWORD dst_unused:UNUSED_PAD src0_sel:WORD_0 src1_sel:DWORD
	v_mul_u32_u24_sdwa v56, v56, v48 dst_sel:DWORD dst_unused:UNUSED_PAD src0_sel:WORD_1 src1_sel:DWORD
	v_mul_u32_u24_sdwa v112, v57, v48 dst_sel:DWORD dst_unused:UNUSED_PAD src0_sel:WORD_0 src1_sel:DWORD
	v_mul_u32_u24_sdwa v57, v57, v48 dst_sel:DWORD dst_unused:UNUSED_PAD src0_sel:WORD_1 src1_sel:DWORD
	v_pk_fma_f16 v105, v151, v70, v75
	v_pk_fma_f16 v107, v152, v70, v76
	;; [unrolled: 1-line block ×4, first 2 shown]
	ds_read2_b64 v[68:71], v63 offset0:64 offset1:96
	ds_read_b128 v[72:75], v42 offset:144
	v_pk_fma_f16 v85, v151, v77, v85
	v_pk_fma_f16 v86, v152, v77, v86
	;; [unrolled: 1-line block ×4, first 2 shown]
	ds_read_b128 v[76:79], v42 offset:160
	ds_read_b128 v[5:8], v42 offset:176
	s_waitcnt lgkmcnt(4)
	v_pk_fma_f16 v89, v64, v94, v89
	v_pk_fma_f16 v62, v64, v56, v62
	;; [unrolled: 1-line block ×16, first 2 shown]
	ds_read2_b64 v[64:67], v63 offset0:128 offset1:160
	s_waitcnt lgkmcnt(4)
	v_pk_fma_f16 v105, v68, v94, v105
	v_pk_fma_f16 v116, v68, v56, v85
	;; [unrolled: 1-line block ×14, first 2 shown]
	ds_read2_b64 v[82:85], v63 offset0:192 offset1:224
	v_mul_u32_u24_sdwa v108, v58, v48 dst_sel:DWORD dst_unused:UNUSED_PAD src0_sel:WORD_0 src1_sel:DWORD
	v_mul_u32_u24_sdwa v109, v58, v48 dst_sel:DWORD dst_unused:UNUSED_PAD src0_sel:WORD_1 src1_sel:DWORD
	v_mul_u32_u24_sdwa v110, v59, v48 dst_sel:DWORD dst_unused:UNUSED_PAD src0_sel:WORD_0 src1_sel:DWORD
	v_mul_u32_u24_sdwa v111, v59, v48 dst_sel:DWORD dst_unused:UNUSED_PAD src0_sel:WORD_1 src1_sel:DWORD
	v_pk_fma_f16 v61, v71, v112, v61
	v_pk_fma_f16 v71, v71, v57, v93
	s_waitcnt lgkmcnt(1)
	v_pk_fma_f16 v89, v64, v108, v89
	v_pk_fma_f16 v62, v64, v109, v62
	;; [unrolled: 1-line block ×16, first 2 shown]
	ds_read2_b64 v[56:59], v53 offset1:32
	ds_read2_b64 v[64:67], v53 offset0:64 offset1:96
	s_waitcnt lgkmcnt(2)
	v_pk_fma_f16 v105, v82, v108, v105
	v_pk_fma_f16 v114, v82, v109, v116
	;; [unrolled: 1-line block ×14, first 2 shown]
	v_mul_u32_u24_sdwa v94, v72, v48 dst_sel:DWORD dst_unused:UNUSED_PAD src0_sel:WORD_0 src1_sel:DWORD
	v_mul_u32_u24_sdwa v72, v72, v48 dst_sel:DWORD dst_unused:UNUSED_PAD src0_sel:WORD_1 src1_sel:DWORD
	v_mul_u32_u24_sdwa v106, v73, v48 dst_sel:DWORD dst_unused:UNUSED_PAD src0_sel:WORD_0 src1_sel:DWORD
	v_mul_u32_u24_sdwa v73, v73, v48 dst_sel:DWORD dst_unused:UNUSED_PAD src0_sel:WORD_1 src1_sel:DWORD
	v_pk_fma_f16 v61, v85, v110, v61
	v_pk_fma_f16 v85, v85, v111, v71
	s_waitcnt lgkmcnt(1)
	v_pk_fma_f16 v89, v56, v94, v89
	v_pk_fma_f16 v62, v56, v72, v62
	;; [unrolled: 1-line block ×16, first 2 shown]
	s_waitcnt lgkmcnt(0)
	v_pk_fma_f16 v105, v64, v94, v105
	v_pk_fma_f16 v109, v64, v72, v114
	ds_read2_b64 v[56:59], v53 offset0:128 offset1:160
	v_pk_fma_f16 v87, v64, v106, v87
	v_pk_fma_f16 v64, v64, v73, v68
	;; [unrolled: 1-line block ×10, first 2 shown]
	ds_read2_b64 v[68:71], v53 offset0:192 offset1:224
	v_pk_fma_f16 v84, v67, v94, v84
	v_pk_fma_f16 v72, v67, v72, v92
	v_mul_u32_u24_sdwa v92, v74, v48 dst_sel:DWORD dst_unused:UNUSED_PAD src0_sel:WORD_0 src1_sel:DWORD
	v_mul_u32_u24_sdwa v74, v74, v48 dst_sel:DWORD dst_unused:UNUSED_PAD src0_sel:WORD_1 src1_sel:DWORD
	v_mul_u32_u24_sdwa v94, v75, v48 dst_sel:DWORD dst_unused:UNUSED_PAD src0_sel:WORD_0 src1_sel:DWORD
	v_mul_u32_u24_sdwa v75, v75, v48 dst_sel:DWORD dst_unused:UNUSED_PAD src0_sel:WORD_1 src1_sel:DWORD
	v_pk_fma_f16 v61, v67, v106, v61
	v_pk_fma_f16 v73, v67, v73, v85
	s_waitcnt lgkmcnt(1)
	v_pk_fma_f16 v85, v56, v92, v89
	v_pk_fma_f16 v62, v56, v74, v62
	v_pk_fma_f16 v89, v56, v94, v93
	v_pk_fma_f16 v93, v56, v75, v95
	v_pk_fma_f16 v95, v57, v92, v96
	v_pk_fma_f16 v96, v57, v74, v97
	v_pk_fma_f16 v97, v57, v94, v98
	v_pk_fma_f16 v98, v57, v75, v99
	v_pk_fma_f16 v99, v58, v92, v100
	v_pk_fma_f16 v80, v58, v74, v80
	v_pk_fma_f16 v100, v58, v94, v101
	v_pk_fma_f16 v101, v58, v75, v102
	v_pk_fma_f16 v102, v59, v92, v103
	v_pk_fma_f16 v103, v59, v74, v107
	v_pk_fma_f16 v106, v59, v94, v108
	v_pk_fma_f16 v104, v59, v75, v104
	s_waitcnt lgkmcnt(0)
	v_pk_fma_f16 v105, v68, v92, v105
	v_pk_fma_f16 v107, v68, v74, v109
	ds_read2_b64 v[56:59], v54 offset1:32
	v_pk_fma_f16 v87, v68, v94, v87
	v_pk_fma_f16 v68, v68, v75, v64
	;; [unrolled: 1-line block ×10, first 2 shown]
	ds_read2_b64 v[64:67], v54 offset0:64 offset1:96
	v_pk_fma_f16 v84, v71, v92, v84
	v_pk_fma_f16 v72, v71, v74, v72
	v_mul_u32_u24_sdwa v74, v76, v48 dst_sel:DWORD dst_unused:UNUSED_PAD src0_sel:WORD_0 src1_sel:DWORD
	v_mul_u32_u24_sdwa v76, v76, v48 dst_sel:DWORD dst_unused:UNUSED_PAD src0_sel:WORD_1 src1_sel:DWORD
	v_mul_u32_u24_sdwa v92, v77, v48 dst_sel:DWORD dst_unused:UNUSED_PAD src0_sel:WORD_0 src1_sel:DWORD
	v_mul_u32_u24_sdwa v77, v77, v48 dst_sel:DWORD dst_unused:UNUSED_PAD src0_sel:WORD_1 src1_sel:DWORD
	v_pk_fma_f16 v61, v71, v94, v61
	v_pk_fma_f16 v73, v71, v75, v73
	s_waitcnt lgkmcnt(1)
	v_pk_fma_f16 v75, v56, v74, v85
	v_pk_fma_f16 v62, v56, v76, v62
	;; [unrolled: 1-line block ×16, first 2 shown]
	s_waitcnt lgkmcnt(0)
	v_pk_fma_f16 v104, v64, v74, v105
	v_pk_fma_f16 v105, v64, v76, v107
	ds_read2_b64 v[56:59], v54 offset0:128 offset1:160
	v_pk_fma_f16 v87, v64, v92, v87
	v_pk_fma_f16 v64, v64, v77, v68
	v_pk_fma_f16 v82, v65, v74, v82
	v_pk_fma_f16 v86, v65, v76, v86
	v_pk_fma_f16 v88, v65, v92, v88
	v_pk_fma_f16 v60, v65, v77, v60
	v_pk_fma_f16 v65, v66, v74, v69
	v_pk_fma_f16 v83, v66, v76, v83
	v_pk_fma_f16 v91, v66, v92, v91
	v_pk_fma_f16 v66, v66, v77, v70
	ds_read2_b64 v[68:71], v54 offset0:192 offset1:224
	v_pk_fma_f16 v74, v67, v74, v84
	v_pk_fma_f16 v72, v67, v76, v72
	v_mul_u32_u24_sdwa v76, v78, v48 dst_sel:DWORD dst_unused:UNUSED_PAD src0_sel:WORD_0 src1_sel:DWORD
	v_mul_u32_u24_sdwa v78, v78, v48 dst_sel:DWORD dst_unused:UNUSED_PAD src0_sel:WORD_1 src1_sel:DWORD
	v_mul_u32_u24_sdwa v84, v79, v48 dst_sel:DWORD dst_unused:UNUSED_PAD src0_sel:WORD_0 src1_sel:DWORD
	v_mul_u32_u24_sdwa v79, v79, v48 dst_sel:DWORD dst_unused:UNUSED_PAD src0_sel:WORD_1 src1_sel:DWORD
	v_pk_fma_f16 v61, v67, v92, v61
	v_pk_fma_f16 v73, v67, v77, v73
	s_waitcnt lgkmcnt(1)
	v_pk_fma_f16 v92, v57, v78, v94
	v_pk_fma_f16 v77, v56, v84, v85
	;; [unrolled: 1-line block ×13, first 2 shown]
	s_waitcnt lgkmcnt(0)
	v_pk_fma_f16 v102, v68, v76, v104
	v_pk_fma_f16 v103, v68, v78, v105
	;; [unrolled: 1-line block ×6, first 2 shown]
	ds_read2_b64 v[64:67], v55 offset0:64 offset1:96
	v_pk_fma_f16 v75, v56, v76, v75
	v_pk_fma_f16 v62, v56, v78, v62
	;; [unrolled: 1-line block ×3, first 2 shown]
	ds_read2_b64 v[56:59], v55 offset1:32
	s_or_b32 s0, s8, 32
	v_pk_fma_f16 v82, v69, v76, v82
	s_mul_hi_i32 s25, s0, s9
	s_mul_i32 s24, s0, s9
	v_pk_fma_f16 v86, v69, v78, v86
	s_lshl_b64 s[24:25], s[24:25], 2
	v_pk_fma_f16 v88, v69, v84, v88
	v_pk_fma_f16 v60, v69, v79, v60
	v_mul_u32_u24_sdwa v178, v5, v48 dst_sel:DWORD dst_unused:UNUSED_PAD src0_sel:WORD_0 src1_sel:DWORD
	v_mul_u32_u24_sdwa v179, v5, v48 dst_sel:DWORD dst_unused:UNUSED_PAD src0_sel:WORD_1 src1_sel:DWORD
	v_mul_u32_u24_sdwa v180, v6, v48 dst_sel:DWORD dst_unused:UNUSED_PAD src0_sel:WORD_0 src1_sel:DWORD
	v_mul_u32_u24_sdwa v181, v6, v48 dst_sel:DWORD dst_unused:UNUSED_PAD src0_sel:WORD_1 src1_sel:DWORD
	s_add_u32 s0, s12, s24
	s_addc_u32 s19, s13, s25
	v_add_co_u32 v5, vcc_lo, s0, v27
	s_waitcnt lgkmcnt(1)
	v_pk_fma_f16 v200, v65, v178, v82
	v_pk_fma_f16 v201, v65, v179, v86
	;; [unrolled: 1-line block ×4, first 2 shown]
	v_add_co_ci_u32_e64 v6, null, s19, v28, vcc_lo
	v_add_co_u32 v60, vcc_lo, s0, v29
	v_pk_fma_f16 v177, v71, v84, v61
	v_add_co_ci_u32_e64 v61, null, s19, v30, vcc_lo
	v_add_co_u32 v5, vcc_lo, v5, v90
	v_add_co_ci_u32_e64 v6, null, 0, v6, vcc_lo
	v_add_co_u32 v60, vcc_lo, v60, v90
	v_add_co_ci_u32_e64 v61, null, 0, v61, vcc_lo
	v_pk_fma_f16 v172, v70, v78, v83
	v_pk_fma_f16 v173, v70, v84, v91
	;; [unrolled: 1-line block ×5, first 2 shown]
	s_waitcnt lgkmcnt(0)
	v_pk_fma_f16 v183, v56, v178, v75
	v_pk_fma_f16 v62, v56, v179, v62
	;; [unrolled: 1-line block ×20, first 2 shown]
	ds_read2_b64 v[56:59], v55 offset0:128 offset1:160
	ds_read2_b64 v[68:71], v55 offset0:192 offset1:224
	ds_read2_b64 v[72:75], v52 offset1:32
	ds_read2_b64 v[76:79], v52 offset0:64 offset1:96
	ds_read2_b64 v[82:85], v52 offset0:128 offset1:160
	;; [unrolled: 1-line block ×3, first 2 shown]
	ds_read2_b64 v[91:94], v51 offset1:32
	ds_read2_b64 v[95:98], v51 offset0:64 offset1:96
	ds_read_b128 v[99:102], v42 offset:192
	ds_read_b128 v[103:106], v42 offset:208
	ds_read2_b64 v[107:110], v51 offset0:128 offset1:160
	ds_read2_b64 v[111:114], v51 offset0:192 offset1:224
	ds_read2_b64 v[115:118], v50 offset1:32
	ds_read2_b64 v[119:122], v50 offset0:64 offset1:96
	ds_read2_b64 v[123:126], v50 offset0:128 offset1:160
	ds_read2_b64 v[127:130], v50 offset0:192 offset1:224
	ds_read2_b64 v[131:134], v49 offset1:32
	ds_read2_b64 v[135:138], v49 offset0:64 offset1:96
	ds_read_b128 v[139:142], v42 offset:224
	ds_read_b128 v[143:146], v42 offset:240
	ds_read2_b64 v[147:150], v49 offset0:128 offset1:160
	ds_read2_b64 v[151:154], v49 offset0:192 offset1:224
	s_waitcnt lgkmcnt(0)
	s_barrier
	buffer_gl0_inv
	s_clause 0x3
	global_load_dwordx4 v[155:158], v[5:6], off
	global_load_dwordx4 v[159:162], v[5:6], off offset:512
	global_load_dwordx4 v[163:166], v[60:61], off
	global_load_dwordx4 v[167:170], v[60:61], off offset:512
	v_pk_fma_f16 v5, v66, v178, v171
	v_pk_fma_f16 v6, v66, v179, v172
	v_pk_fma_f16 v60, v66, v180, v173
	v_pk_fma_f16 v61, v66, v181, v174
	v_pk_fma_f16 v66, v67, v178, v175
	v_pk_fma_f16 v171, v67, v179, v176
	v_pk_fma_f16 v172, v67, v180, v177
	v_mul_u32_u24_sdwa v173, v7, v48 dst_sel:DWORD dst_unused:UNUSED_PAD src0_sel:WORD_0 src1_sel:DWORD
	v_mul_u32_u24_sdwa v7, v7, v48 dst_sel:DWORD dst_unused:UNUSED_PAD src0_sel:WORD_1 src1_sel:DWORD
	v_mul_u32_u24_sdwa v174, v8, v48 dst_sel:DWORD dst_unused:UNUSED_PAD src0_sel:WORD_0 src1_sel:DWORD
	v_mul_u32_u24_sdwa v8, v8, v48 dst_sel:DWORD dst_unused:UNUSED_PAD src0_sel:WORD_1 src1_sel:DWORD
	v_pk_fma_f16 v67, v67, v181, v182
	v_pk_fma_f16 v175, v56, v173, v183
	v_pk_fma_f16 v62, v56, v7, v62
	v_pk_fma_f16 v176, v56, v174, v184
	v_pk_fma_f16 v56, v56, v8, v185
	v_pk_fma_f16 v177, v57, v173, v186
	v_pk_fma_f16 v178, v57, v7, v187
	v_pk_fma_f16 v179, v57, v174, v188
	v_pk_fma_f16 v57, v57, v8, v189
	v_pk_fma_f16 v180, v58, v173, v190
	v_pk_fma_f16 v80, v58, v7, v80
	v_pk_fma_f16 v181, v58, v174, v191
	v_pk_fma_f16 v58, v58, v8, v192
	v_pk_fma_f16 v182, v59, v173, v193
	v_pk_fma_f16 v183, v59, v7, v194
	v_pk_fma_f16 v184, v59, v174, v195
	v_pk_fma_f16 v59, v59, v8, v196
	v_pk_fma_f16 v185, v68, v173, v197
	v_pk_fma_f16 v186, v68, v7, v198
	v_pk_fma_f16 v187, v68, v174, v199
	v_pk_fma_f16 v64, v68, v8, v64
	v_pk_fma_f16 v68, v69, v173, v200
	v_pk_fma_f16 v188, v69, v7, v201
	v_pk_fma_f16 v189, v69, v174, v202
	v_pk_fma_f16 v65, v69, v8, v65
	v_pk_fma_f16 v5, v70, v173, v5
	v_pk_fma_f16 v6, v70, v7, v6
	v_pk_fma_f16 v60, v70, v174, v60
	v_pk_fma_f16 v61, v70, v8, v61
	v_pk_fma_f16 v66, v71, v173, v66
	v_pk_fma_f16 v7, v71, v7, v171
	v_pk_fma_f16 v69, v71, v174, v172
	v_mul_u32_u24_sdwa v70, v99, v48 dst_sel:DWORD dst_unused:UNUSED_PAD src0_sel:WORD_0 src1_sel:DWORD
	v_mul_u32_u24_sdwa v99, v99, v48 dst_sel:DWORD dst_unused:UNUSED_PAD src0_sel:WORD_1 src1_sel:DWORD
	v_mul_u32_u24_sdwa v171, v100, v48 dst_sel:DWORD dst_unused:UNUSED_PAD src0_sel:WORD_0 src1_sel:DWORD
	v_mul_u32_u24_sdwa v100, v100, v48 dst_sel:DWORD dst_unused:UNUSED_PAD src0_sel:WORD_1 src1_sel:DWORD
	v_pk_fma_f16 v8, v71, v8, v67
	v_pk_fma_f16 v67, v72, v70, v175
	v_pk_fma_f16 v62, v72, v99, v62
	v_pk_fma_f16 v71, v72, v171, v176
	v_pk_fma_f16 v56, v72, v100, v56
	v_pk_fma_f16 v72, v73, v70, v177
	v_pk_fma_f16 v172, v73, v99, v178
	v_pk_fma_f16 v173, v73, v171, v179
	v_pk_fma_f16 v57, v73, v100, v57
	v_pk_fma_f16 v73, v74, v70, v180
	v_pk_fma_f16 v80, v74, v99, v80
	v_pk_fma_f16 v174, v74, v171, v181
	v_pk_fma_f16 v58, v74, v100, v58
	v_pk_fma_f16 v74, v75, v70, v182
	v_pk_fma_f16 v175, v75, v99, v183
	v_pk_fma_f16 v176, v75, v171, v184
	v_pk_fma_f16 v59, v75, v100, v59
	v_pk_fma_f16 v75, v76, v70, v185
	v_pk_fma_f16 v177, v76, v99, v186
	v_pk_fma_f16 v178, v76, v171, v187
	v_pk_fma_f16 v64, v76, v100, v64
	v_pk_fma_f16 v68, v77, v70, v68
	v_pk_fma_f16 v76, v77, v99, v188
	v_pk_fma_f16 v179, v77, v171, v189
	v_pk_fma_f16 v65, v77, v100, v65
	v_pk_fma_f16 v5, v78, v70, v5
	v_pk_fma_f16 v6, v78, v99, v6
	v_pk_fma_f16 v60, v78, v171, v60
	v_pk_fma_f16 v61, v78, v100, v61
	v_pk_fma_f16 v66, v79, v70, v66
	v_pk_fma_f16 v7, v79, v99, v7
	v_pk_fma_f16 v69, v79, v171, v69
	v_mul_u32_u24_sdwa v70, v101, v48 dst_sel:DWORD dst_unused:UNUSED_PAD src0_sel:WORD_0 src1_sel:DWORD
	v_mul_u32_u24_sdwa v77, v101, v48 dst_sel:DWORD dst_unused:UNUSED_PAD src0_sel:WORD_1 src1_sel:DWORD
	v_mul_u32_u24_sdwa v78, v102, v48 dst_sel:DWORD dst_unused:UNUSED_PAD src0_sel:WORD_0 src1_sel:DWORD
	v_mul_u32_u24_sdwa v99, v102, v48 dst_sel:DWORD dst_unused:UNUSED_PAD src0_sel:WORD_1 src1_sel:DWORD
	v_pk_fma_f16 v8, v79, v100, v8
	v_pk_fma_f16 v67, v82, v70, v67
	v_pk_fma_f16 v62, v82, v77, v62
	v_pk_fma_f16 v71, v82, v78, v71
	v_pk_fma_f16 v56, v82, v99, v56
	v_pk_fma_f16 v72, v83, v70, v72
	v_pk_fma_f16 v79, v83, v77, v172
	v_pk_fma_f16 v82, v83, v78, v173
	v_pk_fma_f16 v57, v83, v99, v57
	v_pk_fma_f16 v73, v84, v70, v73
	v_pk_fma_f16 v80, v84, v77, v80
	v_pk_fma_f16 v83, v84, v78, v174
	v_pk_fma_f16 v58, v84, v99, v58
	v_pk_fma_f16 v74, v85, v70, v74
	v_pk_fma_f16 v84, v85, v77, v175
	v_pk_fma_f16 v100, v85, v78, v176
	v_pk_fma_f16 v59, v85, v99, v59
	v_pk_fma_f16 v75, v86, v70, v75
	v_pk_fma_f16 v85, v86, v77, v177
	v_pk_fma_f16 v101, v86, v78, v178
	v_pk_fma_f16 v64, v86, v99, v64
	v_pk_fma_f16 v68, v87, v70, v68
	v_pk_fma_f16 v76, v87, v77, v76
	v_pk_fma_f16 v86, v87, v78, v179
	v_pk_fma_f16 v65, v87, v99, v65
	v_pk_fma_f16 v5, v88, v70, v5
	v_pk_fma_f16 v6, v88, v77, v6
	;; [unrolled: 1-line block ×6, first 2 shown]
	v_mul_u32_u24_sdwa v70, v103, v48 dst_sel:DWORD dst_unused:UNUSED_PAD src0_sel:WORD_0 src1_sel:DWORD
	v_mul_u32_u24_sdwa v77, v103, v48 dst_sel:DWORD dst_unused:UNUSED_PAD src0_sel:WORD_1 src1_sel:DWORD
	v_mul_u32_u24_sdwa v78, v104, v48 dst_sel:DWORD dst_unused:UNUSED_PAD src0_sel:WORD_0 src1_sel:DWORD
	v_mul_u32_u24_sdwa v87, v104, v48 dst_sel:DWORD dst_unused:UNUSED_PAD src0_sel:WORD_1 src1_sel:DWORD
	v_pk_fma_f16 v61, v88, v99, v61
	v_pk_fma_f16 v8, v89, v99, v8
	;; [unrolled: 1-line block ×16, first 2 shown]
	v_mul_u32_u24_sdwa v78, v106, v48 dst_sel:DWORD dst_unused:UNUSED_PAD src0_sel:WORD_0 src1_sel:DWORD
	v_mul_u32_u24_sdwa v91, v106, v48 dst_sel:DWORD dst_unused:UNUSED_PAD src0_sel:WORD_1 src1_sel:DWORD
	v_pk_fma_f16 v72, v92, v70, v72
	v_pk_fma_f16 v79, v92, v77, v79
	;; [unrolled: 1-line block ×17, first 2 shown]
	v_mul_u32_u24_sdwa v70, v105, v48 dst_sel:DWORD dst_unused:UNUSED_PAD src0_sel:WORD_0 src1_sel:DWORD
	v_mul_u32_u24_sdwa v77, v105, v48 dst_sel:DWORD dst_unused:UNUSED_PAD src0_sel:WORD_1 src1_sel:DWORD
	v_pk_fma_f16 v8, v98, v87, v8
	v_pk_fma_f16 v56, v107, v91, v56
	;; [unrolled: 1-line block ×7, first 2 shown]
	v_mul_u32_u24_sdwa v89, v140, v48 dst_sel:DWORD dst_unused:UNUSED_PAD src0_sel:WORD_1 src1_sel:DWORD
	v_pk_fma_f16 v67, v107, v70, v67
	v_pk_fma_f16 v62, v107, v77, v62
	;; [unrolled: 1-line block ×19, first 2 shown]
	v_mul_u32_u24_sdwa v70, v139, v48 dst_sel:DWORD dst_unused:UNUSED_PAD src0_sel:WORD_0 src1_sel:DWORD
	v_mul_u32_u24_sdwa v77, v139, v48 dst_sel:DWORD dst_unused:UNUSED_PAD src0_sel:WORD_1 src1_sel:DWORD
	v_pk_fma_f16 v8, v114, v91, v8
	v_pk_fma_f16 v56, v115, v89, v56
	;; [unrolled: 1-line block ×5, first 2 shown]
	v_mul_u32_u24_sdwa v91, v142, v48 dst_sel:DWORD dst_unused:UNUSED_PAD src0_sel:WORD_1 src1_sel:DWORD
	v_pk_fma_f16 v67, v115, v70, v67
	v_pk_fma_f16 v62, v115, v77, v62
	;; [unrolled: 1-line block ×19, first 2 shown]
	v_mul_u32_u24_sdwa v70, v141, v48 dst_sel:DWORD dst_unused:UNUSED_PAD src0_sel:WORD_0 src1_sel:DWORD
	v_mul_u32_u24_sdwa v77, v141, v48 dst_sel:DWORD dst_unused:UNUSED_PAD src0_sel:WORD_1 src1_sel:DWORD
	v_pk_fma_f16 v8, v122, v89, v8
	v_pk_fma_f16 v56, v123, v91, v56
	;; [unrolled: 1-line block ×5, first 2 shown]
	v_mul_u32_u24_sdwa v89, v144, v48 dst_sel:DWORD dst_unused:UNUSED_PAD src0_sel:WORD_1 src1_sel:DWORD
	v_pk_fma_f16 v67, v123, v70, v67
	v_pk_fma_f16 v62, v123, v77, v62
	;; [unrolled: 1-line block ×17, first 2 shown]
	v_mul_u32_u24_sdwa v70, v143, v48 dst_sel:DWORD dst_unused:UNUSED_PAD src0_sel:WORD_0 src1_sel:DWORD
	v_mul_u32_u24_sdwa v77, v143, v48 dst_sel:DWORD dst_unused:UNUSED_PAD src0_sel:WORD_1 src1_sel:DWORD
	v_pk_fma_f16 v56, v131, v89, v56
	v_pk_fma_f16 v57, v132, v89, v57
	;; [unrolled: 1-line block ×4, first 2 shown]
	v_mul_u32_u24_sdwa v93, v146, v48 dst_sel:DWORD dst_unused:UNUSED_PAD src0_sel:WORD_1 src1_sel:DWORD
	v_pk_fma_f16 v71, v107, v78, v71
	v_pk_fma_f16 v82, v108, v78, v82
	;; [unrolled: 1-line block ×6, first 2 shown]
	v_mul_u32_u24_sdwa v78, v140, v48 dst_sel:DWORD dst_unused:UNUSED_PAD src0_sel:WORD_0 src1_sel:DWORD
	v_pk_fma_f16 v65, v128, v91, v65
	v_pk_fma_f16 v61, v129, v91, v61
	;; [unrolled: 1-line block ×13, first 2 shown]
	v_mul_u32_u24_sdwa v77, v145, v48 dst_sel:DWORD dst_unused:UNUSED_PAD src0_sel:WORD_0 src1_sel:DWORD
	v_pk_fma_f16 v95, v147, v93, v56
	v_pk_fma_f16 v98, v148, v93, v57
	;; [unrolled: 1-line block ×4, first 2 shown]
	s_waitcnt vmcnt(3)
	ds_write_b128 v43, v[155:158]
	s_waitcnt vmcnt(2)
	ds_write_b128 v44, v[159:162]
	;; [unrolled: 2-line block ×4, first 2 shown]
	s_waitcnt lgkmcnt(0)
	s_barrier
	buffer_gl0_inv
	ds_read_b128 v[56:59], v42 offset:256
	v_pk_fma_f16 v71, v115, v78, v71
	v_pk_fma_f16 v82, v116, v78, v82
	v_pk_fma_f16 v83, v117, v78, v83
	v_pk_fma_f16 v87, v118, v78, v87
	v_pk_fma_f16 v88, v119, v78, v88
	v_pk_fma_f16 v86, v120, v78, v86
	v_pk_fma_f16 v60, v121, v78, v60
	v_pk_fma_f16 v69, v122, v78, v69
	v_mul_u32_u24_sdwa v78, v142, v48 dst_sel:DWORD dst_unused:UNUSED_PAD src0_sel:WORD_0 src1_sel:DWORD
	v_pk_fma_f16 v72, v132, v70, v72
	v_pk_fma_f16 v73, v133, v70, v73
	;; [unrolled: 1-line block ×12, first 2 shown]
	ds_read2_b64 v[64:67], v63 offset1:32
	v_pk_fma_f16 v71, v123, v78, v71
	v_pk_fma_f16 v82, v124, v78, v82
	v_pk_fma_f16 v83, v125, v78, v83
	v_pk_fma_f16 v87, v126, v78, v87
	v_pk_fma_f16 v88, v127, v78, v88
	v_pk_fma_f16 v86, v128, v78, v86
	v_pk_fma_f16 v60, v129, v78, v60
	v_pk_fma_f16 v69, v130, v78, v69
	v_mul_u32_u24_sdwa v78, v144, v48 dst_sel:DWORD dst_unused:UNUSED_PAD src0_sel:WORD_0 src1_sel:DWORD
	v_mul_u32_u24_sdwa v92, v146, v48 dst_sel:DWORD dst_unused:UNUSED_PAD src0_sel:WORD_0 src1_sel:DWORD
	v_pk_fma_f16 v96, v148, v77, v72
	v_pk_fma_f16 v99, v149, v77, v73
	;; [unrolled: 1-line block ×11, first 2 shown]
	v_mul_u32_u24_sdwa v78, v145, v48 dst_sel:DWORD dst_unused:UNUSED_PAD src0_sel:WORD_1 src1_sel:DWORD
	v_pk_fma_f16 v94, v147, v92, v71
	v_pk_fma_f16 v82, v148, v92, v82
	;; [unrolled: 1-line block ×8, first 2 shown]
	s_waitcnt lgkmcnt(1)
	v_mul_u32_u24_sdwa v111, v56, v48 dst_sel:DWORD dst_unused:UNUSED_PAD src0_sel:WORD_0 src1_sel:DWORD
	v_mul_u32_u24_sdwa v56, v56, v48 dst_sel:DWORD dst_unused:UNUSED_PAD src0_sel:WORD_1 src1_sel:DWORD
	v_mul_u32_u24_sdwa v112, v57, v48 dst_sel:DWORD dst_unused:UNUSED_PAD src0_sel:WORD_0 src1_sel:DWORD
	v_mul_u32_u24_sdwa v57, v57, v48 dst_sel:DWORD dst_unused:UNUSED_PAD src0_sel:WORD_1 src1_sel:DWORD
	v_pk_fma_f16 v103, v151, v77, v75
	v_pk_fma_f16 v88, v151, v92, v88
	;; [unrolled: 1-line block ×7, first 2 shown]
	ds_read2_b64 v[68:71], v63 offset0:64 offset1:96
	ds_read_b128 v[72:75], v42 offset:272
	v_pk_fma_f16 v85, v151, v78, v85
	v_pk_fma_f16 v106, v152, v78, v76
	;; [unrolled: 1-line block ×8, first 2 shown]
	ds_read_b128 v[76:79], v42 offset:288
	ds_read_b128 v[5:8], v42 offset:304
	s_waitcnt lgkmcnt(4)
	v_pk_fma_f16 v89, v64, v111, v89
	v_pk_fma_f16 v62, v64, v56, v62
	;; [unrolled: 1-line block ×16, first 2 shown]
	ds_read2_b64 v[64:67], v63 offset0:128 offset1:160
	s_waitcnt lgkmcnt(4)
	v_pk_fma_f16 v103, v68, v111, v103
	v_pk_fma_f16 v116, v68, v56, v85
	;; [unrolled: 1-line block ×14, first 2 shown]
	ds_read2_b64 v[82:85], v63 offset0:192 offset1:224
	v_mul_u32_u24_sdwa v108, v58, v48 dst_sel:DWORD dst_unused:UNUSED_PAD src0_sel:WORD_0 src1_sel:DWORD
	v_mul_u32_u24_sdwa v109, v58, v48 dst_sel:DWORD dst_unused:UNUSED_PAD src0_sel:WORD_1 src1_sel:DWORD
	v_mul_u32_u24_sdwa v110, v59, v48 dst_sel:DWORD dst_unused:UNUSED_PAD src0_sel:WORD_0 src1_sel:DWORD
	v_mul_u32_u24_sdwa v111, v59, v48 dst_sel:DWORD dst_unused:UNUSED_PAD src0_sel:WORD_1 src1_sel:DWORD
	v_pk_fma_f16 v92, v71, v112, v92
	v_pk_fma_f16 v71, v71, v57, v93
	s_waitcnt lgkmcnt(1)
	v_pk_fma_f16 v89, v64, v108, v89
	v_pk_fma_f16 v62, v64, v109, v62
	;; [unrolled: 1-line block ×16, first 2 shown]
	ds_read2_b64 v[56:59], v53 offset1:32
	ds_read2_b64 v[64:67], v53 offset0:64 offset1:96
	s_waitcnt lgkmcnt(2)
	v_pk_fma_f16 v103, v82, v108, v103
	v_pk_fma_f16 v114, v82, v109, v116
	;; [unrolled: 1-line block ×13, first 2 shown]
	v_mul_u32_u24_sdwa v105, v72, v48 dst_sel:DWORD dst_unused:UNUSED_PAD src0_sel:WORD_0 src1_sel:DWORD
	v_mul_u32_u24_sdwa v72, v72, v48 dst_sel:DWORD dst_unused:UNUSED_PAD src0_sel:WORD_1 src1_sel:DWORD
	v_mul_u32_u24_sdwa v106, v73, v48 dst_sel:DWORD dst_unused:UNUSED_PAD src0_sel:WORD_0 src1_sel:DWORD
	v_mul_u32_u24_sdwa v73, v73, v48 dst_sel:DWORD dst_unused:UNUSED_PAD src0_sel:WORD_1 src1_sel:DWORD
	v_pk_fma_f16 v84, v85, v109, v107
	v_pk_fma_f16 v92, v85, v110, v92
	v_pk_fma_f16 v85, v85, v111, v71
	s_waitcnt lgkmcnt(1)
	v_pk_fma_f16 v89, v56, v105, v89
	v_pk_fma_f16 v62, v56, v72, v62
	;; [unrolled: 1-line block ×16, first 2 shown]
	s_waitcnt lgkmcnt(0)
	v_pk_fma_f16 v103, v64, v105, v103
	v_pk_fma_f16 v109, v64, v72, v114
	ds_read2_b64 v[56:59], v53 offset0:128 offset1:160
	v_pk_fma_f16 v88, v64, v106, v88
	v_pk_fma_f16 v64, v64, v73, v68
	;; [unrolled: 1-line block ×11, first 2 shown]
	ds_read2_b64 v[68:71], v53 offset0:192 offset1:224
	v_pk_fma_f16 v72, v67, v72, v84
	v_pk_fma_f16 v84, v67, v106, v92
	v_mul_u32_u24_sdwa v92, v74, v48 dst_sel:DWORD dst_unused:UNUSED_PAD src0_sel:WORD_0 src1_sel:DWORD
	v_mul_u32_u24_sdwa v74, v74, v48 dst_sel:DWORD dst_unused:UNUSED_PAD src0_sel:WORD_1 src1_sel:DWORD
	v_mul_u32_u24_sdwa v105, v75, v48 dst_sel:DWORD dst_unused:UNUSED_PAD src0_sel:WORD_0 src1_sel:DWORD
	v_mul_u32_u24_sdwa v75, v75, v48 dst_sel:DWORD dst_unused:UNUSED_PAD src0_sel:WORD_1 src1_sel:DWORD
	v_pk_fma_f16 v73, v67, v73, v85
	s_waitcnt lgkmcnt(1)
	v_pk_fma_f16 v85, v56, v92, v89
	v_pk_fma_f16 v62, v56, v74, v62
	;; [unrolled: 1-line block ×16, first 2 shown]
	s_waitcnt lgkmcnt(0)
	v_pk_fma_f16 v103, v68, v92, v103
	v_pk_fma_f16 v107, v68, v74, v109
	ds_read2_b64 v[56:59], v54 offset1:32
	v_pk_fma_f16 v88, v68, v105, v88
	v_pk_fma_f16 v68, v68, v75, v64
	;; [unrolled: 1-line block ×11, first 2 shown]
	ds_read2_b64 v[64:67], v54 offset0:64 offset1:96
	v_pk_fma_f16 v72, v71, v74, v72
	v_pk_fma_f16 v74, v71, v105, v84
	v_mul_u32_u24_sdwa v84, v76, v48 dst_sel:DWORD dst_unused:UNUSED_PAD src0_sel:WORD_0 src1_sel:DWORD
	v_mul_u32_u24_sdwa v76, v76, v48 dst_sel:DWORD dst_unused:UNUSED_PAD src0_sel:WORD_1 src1_sel:DWORD
	v_mul_u32_u24_sdwa v92, v77, v48 dst_sel:DWORD dst_unused:UNUSED_PAD src0_sel:WORD_0 src1_sel:DWORD
	v_mul_u32_u24_sdwa v77, v77, v48 dst_sel:DWORD dst_unused:UNUSED_PAD src0_sel:WORD_1 src1_sel:DWORD
	v_pk_fma_f16 v73, v71, v75, v73
	s_waitcnt lgkmcnt(1)
	v_pk_fma_f16 v75, v56, v84, v85
	v_pk_fma_f16 v62, v56, v76, v62
	;; [unrolled: 1-line block ×16, first 2 shown]
	s_waitcnt lgkmcnt(0)
	v_pk_fma_f16 v103, v64, v84, v103
	v_pk_fma_f16 v105, v64, v76, v107
	ds_read2_b64 v[56:59], v54 offset0:128 offset1:160
	v_pk_fma_f16 v88, v64, v92, v88
	v_pk_fma_f16 v64, v64, v77, v68
	;; [unrolled: 1-line block ×11, first 2 shown]
	ds_read2_b64 v[68:71], v54 offset0:192 offset1:224
	v_pk_fma_f16 v72, v67, v76, v72
	v_mul_u32_u24_sdwa v76, v78, v48 dst_sel:DWORD dst_unused:UNUSED_PAD src0_sel:WORD_0 src1_sel:DWORD
	v_mul_u32_u24_sdwa v78, v78, v48 dst_sel:DWORD dst_unused:UNUSED_PAD src0_sel:WORD_1 src1_sel:DWORD
	v_mul_u32_u24_sdwa v84, v79, v48 dst_sel:DWORD dst_unused:UNUSED_PAD src0_sel:WORD_0 src1_sel:DWORD
	v_mul_u32_u24_sdwa v79, v79, v48 dst_sel:DWORD dst_unused:UNUSED_PAD src0_sel:WORD_1 src1_sel:DWORD
	v_pk_fma_f16 v74, v67, v92, v74
	v_pk_fma_f16 v73, v67, v77, v73
	s_waitcnt lgkmcnt(1)
	v_pk_fma_f16 v75, v56, v76, v75
	v_pk_fma_f16 v62, v56, v78, v62
	;; [unrolled: 1-line block ×16, first 2 shown]
	s_waitcnt lgkmcnt(0)
	v_pk_fma_f16 v101, v68, v76, v103
	v_pk_fma_f16 v102, v68, v78, v105
	ds_read2_b64 v[56:59], v55 offset1:32
	v_pk_fma_f16 v88, v68, v84, v88
	v_pk_fma_f16 v68, v68, v79, v64
	;; [unrolled: 1-line block ×7, first 2 shown]
	ds_read2_b64 v[64:67], v55 offset0:64 offset1:96
	s_or_b32 s0, s8, 48
	v_mul_u32_u24_sdwa v178, v5, v48 dst_sel:DWORD dst_unused:UNUSED_PAD src0_sel:WORD_0 src1_sel:DWORD
	s_mul_hi_i32 s25, s0, s9
	s_mul_i32 s24, s0, s9
	v_mul_u32_u24_sdwa v179, v5, v48 dst_sel:DWORD dst_unused:UNUSED_PAD src0_sel:WORD_1 src1_sel:DWORD
	s_lshl_b64 s[24:25], s[24:25], 2
	v_pk_fma_f16 v173, v70, v84, v60
	s_add_u32 s0, s12, s24
	s_addc_u32 s19, s13, s25
	v_add_co_u32 v5, vcc_lo, s0, v27
	v_mul_u32_u24_sdwa v180, v6, v48 dst_sel:DWORD dst_unused:UNUSED_PAD src0_sel:WORD_0 src1_sel:DWORD
	v_mul_u32_u24_sdwa v181, v6, v48 dst_sel:DWORD dst_unused:UNUSED_PAD src0_sel:WORD_1 src1_sel:DWORD
	v_add_co_ci_u32_e64 v6, null, s19, v28, vcc_lo
	v_add_co_u32 v60, vcc_lo, s0, v29
	v_pk_fma_f16 v174, v70, v79, v61
	v_add_co_ci_u32_e64 v61, null, s19, v30, vcc_lo
	v_add_co_u32 v5, vcc_lo, v5, v90
	v_add_co_ci_u32_e64 v6, null, 0, v6, vcc_lo
	v_add_co_u32 v60, vcc_lo, v60, v90
	v_add_co_ci_u32_e64 v61, null, 0, v61, vcc_lo
	v_pk_fma_f16 v171, v70, v76, v83
	v_pk_fma_f16 v172, v70, v78, v91
	;; [unrolled: 1-line block ×5, first 2 shown]
	s_waitcnt lgkmcnt(1)
	v_pk_fma_f16 v183, v56, v178, v75
	v_pk_fma_f16 v62, v56, v179, v62
	;; [unrolled: 1-line block ×16, first 2 shown]
	s_waitcnt lgkmcnt(0)
	v_pk_fma_f16 v197, v64, v178, v101
	v_pk_fma_f16 v198, v64, v179, v102
	;; [unrolled: 1-line block ×8, first 2 shown]
	ds_read2_b64 v[56:59], v55 offset0:128 offset1:160
	ds_read2_b64 v[68:71], v55 offset0:192 offset1:224
	ds_read2_b64 v[72:75], v52 offset1:32
	ds_read2_b64 v[76:79], v52 offset0:64 offset1:96
	ds_read2_b64 v[82:85], v52 offset0:128 offset1:160
	;; [unrolled: 1-line block ×3, first 2 shown]
	ds_read2_b64 v[91:94], v51 offset1:32
	ds_read2_b64 v[95:98], v51 offset0:64 offset1:96
	ds_read_b128 v[99:102], v42 offset:320
	ds_read_b128 v[103:106], v42 offset:336
	ds_read2_b64 v[107:110], v51 offset0:128 offset1:160
	ds_read2_b64 v[111:114], v51 offset0:192 offset1:224
	ds_read2_b64 v[115:118], v50 offset1:32
	ds_read2_b64 v[119:122], v50 offset0:64 offset1:96
	ds_read2_b64 v[123:126], v50 offset0:128 offset1:160
	;; [unrolled: 1-line block ×3, first 2 shown]
	ds_read2_b64 v[131:134], v49 offset1:32
	ds_read2_b64 v[135:138], v49 offset0:64 offset1:96
	ds_read_b128 v[139:142], v42 offset:352
	ds_read_b128 v[143:146], v42 offset:368
	ds_read2_b64 v[147:150], v49 offset0:128 offset1:160
	ds_read2_b64 v[151:154], v49 offset0:192 offset1:224
	s_waitcnt lgkmcnt(0)
	s_barrier
	buffer_gl0_inv
	s_clause 0x3
	global_load_dwordx4 v[155:158], v[5:6], off
	global_load_dwordx4 v[159:162], v[5:6], off offset:512
	global_load_dwordx4 v[163:166], v[60:61], off
	global_load_dwordx4 v[167:170], v[60:61], off offset:512
	v_pk_fma_f16 v5, v66, v178, v171
	v_pk_fma_f16 v6, v66, v179, v172
	v_pk_fma_f16 v60, v66, v180, v173
	v_pk_fma_f16 v61, v66, v181, v174
	v_pk_fma_f16 v66, v67, v178, v175
	v_pk_fma_f16 v171, v67, v179, v176
	v_pk_fma_f16 v172, v67, v180, v177
	v_mul_u32_u24_sdwa v173, v7, v48 dst_sel:DWORD dst_unused:UNUSED_PAD src0_sel:WORD_0 src1_sel:DWORD
	v_mul_u32_u24_sdwa v7, v7, v48 dst_sel:DWORD dst_unused:UNUSED_PAD src0_sel:WORD_1 src1_sel:DWORD
	v_mul_u32_u24_sdwa v174, v8, v48 dst_sel:DWORD dst_unused:UNUSED_PAD src0_sel:WORD_0 src1_sel:DWORD
	v_mul_u32_u24_sdwa v8, v8, v48 dst_sel:DWORD dst_unused:UNUSED_PAD src0_sel:WORD_1 src1_sel:DWORD
	v_pk_fma_f16 v67, v67, v181, v182
	v_pk_fma_f16 v175, v56, v173, v183
	v_pk_fma_f16 v62, v56, v7, v62
	v_pk_fma_f16 v176, v56, v174, v184
	v_pk_fma_f16 v56, v56, v8, v185
	v_pk_fma_f16 v177, v57, v173, v186
	v_pk_fma_f16 v178, v57, v7, v187
	v_pk_fma_f16 v179, v57, v174, v188
	v_pk_fma_f16 v57, v57, v8, v189
	v_pk_fma_f16 v180, v58, v173, v190
	v_pk_fma_f16 v80, v58, v7, v80
	v_pk_fma_f16 v181, v58, v174, v191
	v_pk_fma_f16 v58, v58, v8, v192
	v_pk_fma_f16 v182, v59, v173, v193
	v_pk_fma_f16 v183, v59, v7, v194
	v_pk_fma_f16 v184, v59, v174, v195
	v_pk_fma_f16 v59, v59, v8, v196
	v_pk_fma_f16 v185, v68, v173, v197
	v_pk_fma_f16 v186, v68, v7, v198
	v_pk_fma_f16 v187, v68, v174, v199
	v_pk_fma_f16 v64, v68, v8, v64
	v_pk_fma_f16 v68, v69, v173, v200
	v_pk_fma_f16 v188, v69, v7, v201
	v_pk_fma_f16 v189, v69, v174, v202
	v_pk_fma_f16 v65, v69, v8, v65
	v_pk_fma_f16 v5, v70, v173, v5
	v_pk_fma_f16 v6, v70, v7, v6
	v_pk_fma_f16 v60, v70, v174, v60
	v_pk_fma_f16 v61, v70, v8, v61
	v_pk_fma_f16 v66, v71, v173, v66
	v_pk_fma_f16 v7, v71, v7, v171
	v_pk_fma_f16 v69, v71, v174, v172
	v_mul_u32_u24_sdwa v70, v99, v48 dst_sel:DWORD dst_unused:UNUSED_PAD src0_sel:WORD_0 src1_sel:DWORD
	v_mul_u32_u24_sdwa v99, v99, v48 dst_sel:DWORD dst_unused:UNUSED_PAD src0_sel:WORD_1 src1_sel:DWORD
	v_mul_u32_u24_sdwa v171, v100, v48 dst_sel:DWORD dst_unused:UNUSED_PAD src0_sel:WORD_0 src1_sel:DWORD
	v_mul_u32_u24_sdwa v100, v100, v48 dst_sel:DWORD dst_unused:UNUSED_PAD src0_sel:WORD_1 src1_sel:DWORD
	v_pk_fma_f16 v8, v71, v8, v67
	v_pk_fma_f16 v67, v72, v70, v175
	v_pk_fma_f16 v62, v72, v99, v62
	v_pk_fma_f16 v71, v72, v171, v176
	v_pk_fma_f16 v56, v72, v100, v56
	v_pk_fma_f16 v72, v73, v70, v177
	v_pk_fma_f16 v172, v73, v99, v178
	v_pk_fma_f16 v173, v73, v171, v179
	v_pk_fma_f16 v57, v73, v100, v57
	v_pk_fma_f16 v73, v74, v70, v180
	v_pk_fma_f16 v80, v74, v99, v80
	v_pk_fma_f16 v174, v74, v171, v181
	v_pk_fma_f16 v58, v74, v100, v58
	v_pk_fma_f16 v74, v75, v70, v182
	v_pk_fma_f16 v175, v75, v99, v183
	v_pk_fma_f16 v176, v75, v171, v184
	v_pk_fma_f16 v59, v75, v100, v59
	v_pk_fma_f16 v75, v76, v70, v185
	v_pk_fma_f16 v177, v76, v99, v186
	v_pk_fma_f16 v178, v76, v171, v187
	v_pk_fma_f16 v64, v76, v100, v64
	v_pk_fma_f16 v68, v77, v70, v68
	v_pk_fma_f16 v76, v77, v99, v188
	v_pk_fma_f16 v179, v77, v171, v189
	v_pk_fma_f16 v65, v77, v100, v65
	;; [unrolled: 36-line block ×3, first 2 shown]
	v_pk_fma_f16 v5, v88, v70, v5
	v_pk_fma_f16 v6, v88, v77, v6
	;; [unrolled: 1-line block ×6, first 2 shown]
	v_mul_u32_u24_sdwa v70, v103, v48 dst_sel:DWORD dst_unused:UNUSED_PAD src0_sel:WORD_0 src1_sel:DWORD
	v_mul_u32_u24_sdwa v77, v103, v48 dst_sel:DWORD dst_unused:UNUSED_PAD src0_sel:WORD_1 src1_sel:DWORD
	v_mul_u32_u24_sdwa v78, v104, v48 dst_sel:DWORD dst_unused:UNUSED_PAD src0_sel:WORD_0 src1_sel:DWORD
	v_mul_u32_u24_sdwa v87, v104, v48 dst_sel:DWORD dst_unused:UNUSED_PAD src0_sel:WORD_1 src1_sel:DWORD
	v_pk_fma_f16 v61, v88, v99, v61
	v_pk_fma_f16 v8, v89, v99, v8
	;; [unrolled: 1-line block ×16, first 2 shown]
	v_mul_u32_u24_sdwa v78, v106, v48 dst_sel:DWORD dst_unused:UNUSED_PAD src0_sel:WORD_0 src1_sel:DWORD
	v_mul_u32_u24_sdwa v91, v106, v48 dst_sel:DWORD dst_unused:UNUSED_PAD src0_sel:WORD_1 src1_sel:DWORD
	v_pk_fma_f16 v72, v92, v70, v72
	v_pk_fma_f16 v79, v92, v77, v79
	;; [unrolled: 1-line block ×17, first 2 shown]
	v_mul_u32_u24_sdwa v70, v105, v48 dst_sel:DWORD dst_unused:UNUSED_PAD src0_sel:WORD_0 src1_sel:DWORD
	v_mul_u32_u24_sdwa v77, v105, v48 dst_sel:DWORD dst_unused:UNUSED_PAD src0_sel:WORD_1 src1_sel:DWORD
	v_pk_fma_f16 v8, v98, v87, v8
	v_pk_fma_f16 v56, v107, v91, v56
	;; [unrolled: 1-line block ×7, first 2 shown]
	v_mul_u32_u24_sdwa v89, v140, v48 dst_sel:DWORD dst_unused:UNUSED_PAD src0_sel:WORD_1 src1_sel:DWORD
	v_pk_fma_f16 v67, v107, v70, v67
	v_pk_fma_f16 v62, v107, v77, v62
	;; [unrolled: 1-line block ×19, first 2 shown]
	v_mul_u32_u24_sdwa v70, v139, v48 dst_sel:DWORD dst_unused:UNUSED_PAD src0_sel:WORD_0 src1_sel:DWORD
	v_mul_u32_u24_sdwa v77, v139, v48 dst_sel:DWORD dst_unused:UNUSED_PAD src0_sel:WORD_1 src1_sel:DWORD
	v_pk_fma_f16 v8, v114, v91, v8
	v_pk_fma_f16 v56, v115, v89, v56
	;; [unrolled: 1-line block ×5, first 2 shown]
	v_mul_u32_u24_sdwa v91, v142, v48 dst_sel:DWORD dst_unused:UNUSED_PAD src0_sel:WORD_1 src1_sel:DWORD
	v_pk_fma_f16 v67, v115, v70, v67
	v_pk_fma_f16 v62, v115, v77, v62
	;; [unrolled: 1-line block ×19, first 2 shown]
	v_mul_u32_u24_sdwa v70, v141, v48 dst_sel:DWORD dst_unused:UNUSED_PAD src0_sel:WORD_0 src1_sel:DWORD
	v_mul_u32_u24_sdwa v77, v141, v48 dst_sel:DWORD dst_unused:UNUSED_PAD src0_sel:WORD_1 src1_sel:DWORD
	v_pk_fma_f16 v8, v122, v89, v8
	v_pk_fma_f16 v56, v123, v91, v56
	;; [unrolled: 1-line block ×5, first 2 shown]
	v_mul_u32_u24_sdwa v89, v144, v48 dst_sel:DWORD dst_unused:UNUSED_PAD src0_sel:WORD_1 src1_sel:DWORD
	v_pk_fma_f16 v67, v123, v70, v67
	v_pk_fma_f16 v62, v123, v77, v62
	;; [unrolled: 1-line block ×17, first 2 shown]
	v_mul_u32_u24_sdwa v70, v143, v48 dst_sel:DWORD dst_unused:UNUSED_PAD src0_sel:WORD_0 src1_sel:DWORD
	v_mul_u32_u24_sdwa v77, v143, v48 dst_sel:DWORD dst_unused:UNUSED_PAD src0_sel:WORD_1 src1_sel:DWORD
	v_pk_fma_f16 v56, v131, v89, v56
	v_pk_fma_f16 v57, v132, v89, v57
	;; [unrolled: 1-line block ×4, first 2 shown]
	v_mul_u32_u24_sdwa v93, v146, v48 dst_sel:DWORD dst_unused:UNUSED_PAD src0_sel:WORD_1 src1_sel:DWORD
	v_pk_fma_f16 v71, v107, v78, v71
	v_pk_fma_f16 v82, v108, v78, v82
	;; [unrolled: 1-line block ×6, first 2 shown]
	v_mul_u32_u24_sdwa v78, v140, v48 dst_sel:DWORD dst_unused:UNUSED_PAD src0_sel:WORD_0 src1_sel:DWORD
	v_pk_fma_f16 v65, v128, v91, v65
	v_pk_fma_f16 v61, v129, v91, v61
	;; [unrolled: 1-line block ×13, first 2 shown]
	v_mul_u32_u24_sdwa v77, v145, v48 dst_sel:DWORD dst_unused:UNUSED_PAD src0_sel:WORD_0 src1_sel:DWORD
	v_pk_fma_f16 v95, v147, v93, v56
	v_pk_fma_f16 v98, v148, v93, v57
	;; [unrolled: 1-line block ×4, first 2 shown]
	s_waitcnt vmcnt(3)
	ds_write_b128 v43, v[155:158]
	s_waitcnt vmcnt(2)
	ds_write_b128 v44, v[159:162]
	;; [unrolled: 2-line block ×4, first 2 shown]
	s_waitcnt lgkmcnt(0)
	s_barrier
	buffer_gl0_inv
	ds_read_b128 v[56:59], v42 offset:384
	v_pk_fma_f16 v71, v115, v78, v71
	v_pk_fma_f16 v82, v116, v78, v82
	;; [unrolled: 1-line block ×8, first 2 shown]
	v_mul_u32_u24_sdwa v78, v142, v48 dst_sel:DWORD dst_unused:UNUSED_PAD src0_sel:WORD_0 src1_sel:DWORD
	v_pk_fma_f16 v72, v132, v70, v72
	v_pk_fma_f16 v73, v133, v70, v73
	;; [unrolled: 1-line block ×12, first 2 shown]
	ds_read2_b64 v[64:67], v63 offset1:32
	v_pk_fma_f16 v71, v123, v78, v71
	v_pk_fma_f16 v82, v124, v78, v82
	;; [unrolled: 1-line block ×8, first 2 shown]
	v_mul_u32_u24_sdwa v78, v144, v48 dst_sel:DWORD dst_unused:UNUSED_PAD src0_sel:WORD_0 src1_sel:DWORD
	v_mul_u32_u24_sdwa v92, v146, v48 dst_sel:DWORD dst_unused:UNUSED_PAD src0_sel:WORD_0 src1_sel:DWORD
	v_pk_fma_f16 v96, v148, v77, v72
	v_pk_fma_f16 v99, v149, v77, v73
	;; [unrolled: 1-line block ×11, first 2 shown]
	v_mul_u32_u24_sdwa v78, v145, v48 dst_sel:DWORD dst_unused:UNUSED_PAD src0_sel:WORD_1 src1_sel:DWORD
	v_pk_fma_f16 v94, v147, v92, v71
	v_pk_fma_f16 v82, v148, v92, v82
	v_pk_fma_f16 v83, v149, v92, v83
	v_pk_fma_f16 v87, v150, v92, v87
	v_pk_fma_f16 v62, v147, v78, v62
	v_pk_fma_f16 v97, v148, v78, v79
	v_pk_fma_f16 v80, v149, v78, v80
	v_pk_fma_f16 v84, v150, v78, v84
	s_waitcnt lgkmcnt(1)
	v_mul_u32_u24_sdwa v111, v56, v48 dst_sel:DWORD dst_unused:UNUSED_PAD src0_sel:WORD_0 src1_sel:DWORD
	v_mul_u32_u24_sdwa v56, v56, v48 dst_sel:DWORD dst_unused:UNUSED_PAD src0_sel:WORD_1 src1_sel:DWORD
	v_mul_u32_u24_sdwa v112, v57, v48 dst_sel:DWORD dst_unused:UNUSED_PAD src0_sel:WORD_0 src1_sel:DWORD
	v_mul_u32_u24_sdwa v57, v57, v48 dst_sel:DWORD dst_unused:UNUSED_PAD src0_sel:WORD_1 src1_sel:DWORD
	v_pk_fma_f16 v103, v151, v77, v75
	v_pk_fma_f16 v88, v151, v92, v88
	;; [unrolled: 1-line block ×7, first 2 shown]
	ds_read2_b64 v[68:71], v63 offset0:64 offset1:96
	ds_read_b128 v[72:75], v42 offset:400
	v_pk_fma_f16 v85, v151, v78, v85
	v_pk_fma_f16 v106, v152, v78, v76
	v_pk_fma_f16 v91, v152, v93, v91
	v_pk_fma_f16 v107, v153, v77, v5
	v_pk_fma_f16 v108, v153, v78, v6
	v_pk_fma_f16 v61, v153, v93, v61
	v_pk_fma_f16 v110, v154, v78, v7
	v_pk_fma_f16 v93, v154, v93, v8
	ds_read_b128 v[76:79], v42 offset:416
	ds_read_b128 v[5:8], v42 offset:432
	s_waitcnt lgkmcnt(4)
	v_pk_fma_f16 v89, v64, v111, v89
	v_pk_fma_f16 v62, v64, v56, v62
	;; [unrolled: 1-line block ×16, first 2 shown]
	ds_read2_b64 v[64:67], v63 offset0:128 offset1:160
	s_waitcnt lgkmcnt(4)
	v_pk_fma_f16 v103, v68, v111, v103
	v_pk_fma_f16 v116, v68, v56, v85
	;; [unrolled: 1-line block ×14, first 2 shown]
	ds_read2_b64 v[82:85], v63 offset0:192 offset1:224
	v_mul_u32_u24_sdwa v108, v58, v48 dst_sel:DWORD dst_unused:UNUSED_PAD src0_sel:WORD_0 src1_sel:DWORD
	v_mul_u32_u24_sdwa v109, v58, v48 dst_sel:DWORD dst_unused:UNUSED_PAD src0_sel:WORD_1 src1_sel:DWORD
	v_mul_u32_u24_sdwa v110, v59, v48 dst_sel:DWORD dst_unused:UNUSED_PAD src0_sel:WORD_0 src1_sel:DWORD
	v_mul_u32_u24_sdwa v111, v59, v48 dst_sel:DWORD dst_unused:UNUSED_PAD src0_sel:WORD_1 src1_sel:DWORD
	v_pk_fma_f16 v92, v71, v112, v92
	v_pk_fma_f16 v71, v71, v57, v93
	s_waitcnt lgkmcnt(1)
	v_pk_fma_f16 v89, v64, v108, v89
	v_pk_fma_f16 v62, v64, v109, v62
	;; [unrolled: 1-line block ×16, first 2 shown]
	ds_read2_b64 v[56:59], v53 offset1:32
	ds_read2_b64 v[64:67], v53 offset0:64 offset1:96
	s_waitcnt lgkmcnt(2)
	v_pk_fma_f16 v103, v82, v108, v103
	v_pk_fma_f16 v114, v82, v109, v116
	;; [unrolled: 1-line block ×13, first 2 shown]
	v_mul_u32_u24_sdwa v105, v72, v48 dst_sel:DWORD dst_unused:UNUSED_PAD src0_sel:WORD_0 src1_sel:DWORD
	v_mul_u32_u24_sdwa v72, v72, v48 dst_sel:DWORD dst_unused:UNUSED_PAD src0_sel:WORD_1 src1_sel:DWORD
	v_mul_u32_u24_sdwa v106, v73, v48 dst_sel:DWORD dst_unused:UNUSED_PAD src0_sel:WORD_0 src1_sel:DWORD
	v_mul_u32_u24_sdwa v73, v73, v48 dst_sel:DWORD dst_unused:UNUSED_PAD src0_sel:WORD_1 src1_sel:DWORD
	v_pk_fma_f16 v84, v85, v109, v107
	v_pk_fma_f16 v92, v85, v110, v92
	;; [unrolled: 1-line block ×3, first 2 shown]
	s_waitcnt lgkmcnt(1)
	v_pk_fma_f16 v89, v56, v105, v89
	v_pk_fma_f16 v62, v56, v72, v62
	;; [unrolled: 1-line block ×16, first 2 shown]
	s_waitcnt lgkmcnt(0)
	v_pk_fma_f16 v103, v64, v105, v103
	v_pk_fma_f16 v109, v64, v72, v114
	ds_read2_b64 v[56:59], v53 offset0:128 offset1:160
	v_pk_fma_f16 v88, v64, v106, v88
	v_pk_fma_f16 v64, v64, v73, v68
	;; [unrolled: 1-line block ×11, first 2 shown]
	ds_read2_b64 v[68:71], v53 offset0:192 offset1:224
	v_pk_fma_f16 v72, v67, v72, v84
	v_pk_fma_f16 v84, v67, v106, v92
	v_mul_u32_u24_sdwa v92, v74, v48 dst_sel:DWORD dst_unused:UNUSED_PAD src0_sel:WORD_0 src1_sel:DWORD
	v_mul_u32_u24_sdwa v74, v74, v48 dst_sel:DWORD dst_unused:UNUSED_PAD src0_sel:WORD_1 src1_sel:DWORD
	v_mul_u32_u24_sdwa v105, v75, v48 dst_sel:DWORD dst_unused:UNUSED_PAD src0_sel:WORD_0 src1_sel:DWORD
	v_mul_u32_u24_sdwa v75, v75, v48 dst_sel:DWORD dst_unused:UNUSED_PAD src0_sel:WORD_1 src1_sel:DWORD
	v_pk_fma_f16 v73, v67, v73, v85
	s_waitcnt lgkmcnt(1)
	v_pk_fma_f16 v85, v56, v92, v89
	v_pk_fma_f16 v62, v56, v74, v62
	;; [unrolled: 1-line block ×16, first 2 shown]
	s_waitcnt lgkmcnt(0)
	v_pk_fma_f16 v103, v68, v92, v103
	v_pk_fma_f16 v107, v68, v74, v109
	ds_read2_b64 v[56:59], v54 offset1:32
	v_pk_fma_f16 v88, v68, v105, v88
	v_pk_fma_f16 v68, v68, v75, v64
	;; [unrolled: 1-line block ×11, first 2 shown]
	ds_read2_b64 v[64:67], v54 offset0:64 offset1:96
	v_pk_fma_f16 v72, v71, v74, v72
	v_pk_fma_f16 v74, v71, v105, v84
	v_mul_u32_u24_sdwa v84, v76, v48 dst_sel:DWORD dst_unused:UNUSED_PAD src0_sel:WORD_0 src1_sel:DWORD
	v_mul_u32_u24_sdwa v76, v76, v48 dst_sel:DWORD dst_unused:UNUSED_PAD src0_sel:WORD_1 src1_sel:DWORD
	v_mul_u32_u24_sdwa v92, v77, v48 dst_sel:DWORD dst_unused:UNUSED_PAD src0_sel:WORD_0 src1_sel:DWORD
	v_mul_u32_u24_sdwa v77, v77, v48 dst_sel:DWORD dst_unused:UNUSED_PAD src0_sel:WORD_1 src1_sel:DWORD
	v_pk_fma_f16 v73, v71, v75, v73
	s_waitcnt lgkmcnt(1)
	v_pk_fma_f16 v75, v56, v84, v85
	v_pk_fma_f16 v62, v56, v76, v62
	;; [unrolled: 1-line block ×16, first 2 shown]
	s_waitcnt lgkmcnt(0)
	v_pk_fma_f16 v103, v64, v84, v103
	v_pk_fma_f16 v105, v64, v76, v107
	ds_read2_b64 v[56:59], v54 offset0:128 offset1:160
	v_pk_fma_f16 v88, v64, v92, v88
	v_pk_fma_f16 v64, v64, v77, v68
	v_pk_fma_f16 v82, v65, v84, v82
	v_pk_fma_f16 v104, v65, v76, v104
	v_pk_fma_f16 v86, v65, v92, v86
	v_pk_fma_f16 v65, v65, v77, v69
	v_pk_fma_f16 v83, v66, v84, v83
	v_pk_fma_f16 v91, v66, v76, v91
	v_pk_fma_f16 v60, v66, v92, v60
	v_pk_fma_f16 v61, v66, v77, v61
	v_pk_fma_f16 v66, v67, v84, v70
	ds_read2_b64 v[68:71], v54 offset0:192 offset1:224
	v_pk_fma_f16 v72, v67, v76, v72
	v_mul_u32_u24_sdwa v76, v78, v48 dst_sel:DWORD dst_unused:UNUSED_PAD src0_sel:WORD_0 src1_sel:DWORD
	v_mul_u32_u24_sdwa v78, v78, v48 dst_sel:DWORD dst_unused:UNUSED_PAD src0_sel:WORD_1 src1_sel:DWORD
	v_mul_u32_u24_sdwa v84, v79, v48 dst_sel:DWORD dst_unused:UNUSED_PAD src0_sel:WORD_0 src1_sel:DWORD
	v_mul_u32_u24_sdwa v79, v79, v48 dst_sel:DWORD dst_unused:UNUSED_PAD src0_sel:WORD_1 src1_sel:DWORD
	v_pk_fma_f16 v74, v67, v92, v74
	v_pk_fma_f16 v73, v67, v77, v73
	s_waitcnt lgkmcnt(1)
	v_pk_fma_f16 v75, v56, v76, v75
	v_pk_fma_f16 v62, v56, v78, v62
	;; [unrolled: 1-line block ×16, first 2 shown]
	s_waitcnt lgkmcnt(0)
	v_pk_fma_f16 v101, v68, v76, v103
	v_pk_fma_f16 v102, v68, v78, v105
	ds_read2_b64 v[56:59], v55 offset1:32
	v_pk_fma_f16 v88, v68, v84, v88
	v_pk_fma_f16 v68, v68, v79, v64
	;; [unrolled: 1-line block ×7, first 2 shown]
	ds_read2_b64 v[64:67], v55 offset0:64 offset1:96
	s_or_b32 s0, s8, 64
	v_mul_u32_u24_sdwa v178, v5, v48 dst_sel:DWORD dst_unused:UNUSED_PAD src0_sel:WORD_0 src1_sel:DWORD
	s_mul_hi_i32 s25, s0, s9
	s_mul_i32 s24, s0, s9
	v_mul_u32_u24_sdwa v179, v5, v48 dst_sel:DWORD dst_unused:UNUSED_PAD src0_sel:WORD_1 src1_sel:DWORD
	s_lshl_b64 s[24:25], s[24:25], 2
	v_pk_fma_f16 v173, v70, v84, v60
	s_add_u32 s0, s12, s24
	s_addc_u32 s19, s13, s25
	v_add_co_u32 v5, vcc_lo, s0, v27
	v_mul_u32_u24_sdwa v180, v6, v48 dst_sel:DWORD dst_unused:UNUSED_PAD src0_sel:WORD_0 src1_sel:DWORD
	v_mul_u32_u24_sdwa v181, v6, v48 dst_sel:DWORD dst_unused:UNUSED_PAD src0_sel:WORD_1 src1_sel:DWORD
	v_add_co_ci_u32_e64 v6, null, s19, v28, vcc_lo
	v_add_co_u32 v60, vcc_lo, s0, v29
	v_pk_fma_f16 v174, v70, v79, v61
	v_add_co_ci_u32_e64 v61, null, s19, v30, vcc_lo
	v_add_co_u32 v5, vcc_lo, v5, v90
	v_add_co_ci_u32_e64 v6, null, 0, v6, vcc_lo
	v_add_co_u32 v60, vcc_lo, v60, v90
	v_add_co_ci_u32_e64 v61, null, 0, v61, vcc_lo
	v_pk_fma_f16 v171, v70, v76, v83
	v_pk_fma_f16 v172, v70, v78, v91
	;; [unrolled: 1-line block ×5, first 2 shown]
	s_waitcnt lgkmcnt(1)
	v_pk_fma_f16 v183, v56, v178, v75
	v_pk_fma_f16 v62, v56, v179, v62
	;; [unrolled: 1-line block ×16, first 2 shown]
	s_waitcnt lgkmcnt(0)
	v_pk_fma_f16 v197, v64, v178, v101
	v_pk_fma_f16 v198, v64, v179, v102
	;; [unrolled: 1-line block ×8, first 2 shown]
	ds_read2_b64 v[56:59], v55 offset0:128 offset1:160
	ds_read2_b64 v[68:71], v55 offset0:192 offset1:224
	ds_read2_b64 v[72:75], v52 offset1:32
	ds_read2_b64 v[76:79], v52 offset0:64 offset1:96
	ds_read2_b64 v[82:85], v52 offset0:128 offset1:160
	;; [unrolled: 1-line block ×3, first 2 shown]
	ds_read2_b64 v[91:94], v51 offset1:32
	ds_read2_b64 v[95:98], v51 offset0:64 offset1:96
	ds_read_b128 v[99:102], v42 offset:448
	ds_read_b128 v[103:106], v42 offset:464
	ds_read2_b64 v[107:110], v51 offset0:128 offset1:160
	ds_read2_b64 v[111:114], v51 offset0:192 offset1:224
	ds_read2_b64 v[115:118], v50 offset1:32
	ds_read2_b64 v[119:122], v50 offset0:64 offset1:96
	ds_read2_b64 v[123:126], v50 offset0:128 offset1:160
	;; [unrolled: 1-line block ×3, first 2 shown]
	ds_read2_b64 v[131:134], v49 offset1:32
	ds_read2_b64 v[135:138], v49 offset0:64 offset1:96
	ds_read_b128 v[139:142], v42 offset:480
	ds_read_b128 v[143:146], v42 offset:496
	ds_read2_b64 v[147:150], v49 offset0:128 offset1:160
	ds_read2_b64 v[151:154], v49 offset0:192 offset1:224
	s_waitcnt lgkmcnt(0)
	s_barrier
	buffer_gl0_inv
	s_clause 0x3
	global_load_dwordx4 v[155:158], v[5:6], off
	global_load_dwordx4 v[159:162], v[5:6], off offset:512
	global_load_dwordx4 v[163:166], v[60:61], off
	global_load_dwordx4 v[167:170], v[60:61], off offset:512
	v_pk_fma_f16 v5, v66, v178, v171
	v_pk_fma_f16 v6, v66, v179, v172
	v_pk_fma_f16 v60, v66, v180, v173
	v_pk_fma_f16 v61, v66, v181, v174
	v_pk_fma_f16 v66, v67, v178, v175
	v_pk_fma_f16 v171, v67, v179, v176
	v_pk_fma_f16 v172, v67, v180, v177
	v_mul_u32_u24_sdwa v173, v7, v48 dst_sel:DWORD dst_unused:UNUSED_PAD src0_sel:WORD_0 src1_sel:DWORD
	v_mul_u32_u24_sdwa v7, v7, v48 dst_sel:DWORD dst_unused:UNUSED_PAD src0_sel:WORD_1 src1_sel:DWORD
	v_mul_u32_u24_sdwa v174, v8, v48 dst_sel:DWORD dst_unused:UNUSED_PAD src0_sel:WORD_0 src1_sel:DWORD
	v_mul_u32_u24_sdwa v8, v8, v48 dst_sel:DWORD dst_unused:UNUSED_PAD src0_sel:WORD_1 src1_sel:DWORD
	v_pk_fma_f16 v67, v67, v181, v182
	v_pk_fma_f16 v175, v56, v173, v183
	v_pk_fma_f16 v62, v56, v7, v62
	v_pk_fma_f16 v176, v56, v174, v184
	v_pk_fma_f16 v56, v56, v8, v185
	v_pk_fma_f16 v177, v57, v173, v186
	v_pk_fma_f16 v178, v57, v7, v187
	v_pk_fma_f16 v179, v57, v174, v188
	v_pk_fma_f16 v57, v57, v8, v189
	v_pk_fma_f16 v180, v58, v173, v190
	v_pk_fma_f16 v80, v58, v7, v80
	v_pk_fma_f16 v181, v58, v174, v191
	v_pk_fma_f16 v58, v58, v8, v192
	v_pk_fma_f16 v182, v59, v173, v193
	v_pk_fma_f16 v183, v59, v7, v194
	v_pk_fma_f16 v184, v59, v174, v195
	v_pk_fma_f16 v59, v59, v8, v196
	v_pk_fma_f16 v185, v68, v173, v197
	v_pk_fma_f16 v186, v68, v7, v198
	v_pk_fma_f16 v187, v68, v174, v199
	v_pk_fma_f16 v64, v68, v8, v64
	v_pk_fma_f16 v68, v69, v173, v200
	v_pk_fma_f16 v188, v69, v7, v201
	v_pk_fma_f16 v189, v69, v174, v202
	v_pk_fma_f16 v65, v69, v8, v65
	v_pk_fma_f16 v5, v70, v173, v5
	v_pk_fma_f16 v6, v70, v7, v6
	v_pk_fma_f16 v60, v70, v174, v60
	v_pk_fma_f16 v61, v70, v8, v61
	v_pk_fma_f16 v66, v71, v173, v66
	v_pk_fma_f16 v7, v71, v7, v171
	v_pk_fma_f16 v69, v71, v174, v172
	v_mul_u32_u24_sdwa v70, v99, v48 dst_sel:DWORD dst_unused:UNUSED_PAD src0_sel:WORD_0 src1_sel:DWORD
	v_mul_u32_u24_sdwa v99, v99, v48 dst_sel:DWORD dst_unused:UNUSED_PAD src0_sel:WORD_1 src1_sel:DWORD
	v_mul_u32_u24_sdwa v171, v100, v48 dst_sel:DWORD dst_unused:UNUSED_PAD src0_sel:WORD_0 src1_sel:DWORD
	v_mul_u32_u24_sdwa v100, v100, v48 dst_sel:DWORD dst_unused:UNUSED_PAD src0_sel:WORD_1 src1_sel:DWORD
	v_pk_fma_f16 v8, v71, v8, v67
	v_pk_fma_f16 v67, v72, v70, v175
	v_pk_fma_f16 v62, v72, v99, v62
	v_pk_fma_f16 v71, v72, v171, v176
	v_pk_fma_f16 v56, v72, v100, v56
	v_pk_fma_f16 v72, v73, v70, v177
	v_pk_fma_f16 v172, v73, v99, v178
	v_pk_fma_f16 v173, v73, v171, v179
	v_pk_fma_f16 v57, v73, v100, v57
	v_pk_fma_f16 v73, v74, v70, v180
	v_pk_fma_f16 v80, v74, v99, v80
	v_pk_fma_f16 v174, v74, v171, v181
	v_pk_fma_f16 v58, v74, v100, v58
	v_pk_fma_f16 v74, v75, v70, v182
	v_pk_fma_f16 v175, v75, v99, v183
	v_pk_fma_f16 v176, v75, v171, v184
	v_pk_fma_f16 v59, v75, v100, v59
	v_pk_fma_f16 v75, v76, v70, v185
	v_pk_fma_f16 v177, v76, v99, v186
	v_pk_fma_f16 v178, v76, v171, v187
	v_pk_fma_f16 v64, v76, v100, v64
	v_pk_fma_f16 v68, v77, v70, v68
	v_pk_fma_f16 v76, v77, v99, v188
	v_pk_fma_f16 v179, v77, v171, v189
	v_pk_fma_f16 v65, v77, v100, v65
	;; [unrolled: 36-line block ×3, first 2 shown]
	v_pk_fma_f16 v5, v88, v70, v5
	v_pk_fma_f16 v6, v88, v77, v6
	;; [unrolled: 1-line block ×6, first 2 shown]
	v_mul_u32_u24_sdwa v70, v103, v48 dst_sel:DWORD dst_unused:UNUSED_PAD src0_sel:WORD_0 src1_sel:DWORD
	v_mul_u32_u24_sdwa v77, v103, v48 dst_sel:DWORD dst_unused:UNUSED_PAD src0_sel:WORD_1 src1_sel:DWORD
	v_mul_u32_u24_sdwa v78, v104, v48 dst_sel:DWORD dst_unused:UNUSED_PAD src0_sel:WORD_0 src1_sel:DWORD
	v_mul_u32_u24_sdwa v87, v104, v48 dst_sel:DWORD dst_unused:UNUSED_PAD src0_sel:WORD_1 src1_sel:DWORD
	v_pk_fma_f16 v61, v88, v99, v61
	v_pk_fma_f16 v8, v89, v99, v8
	;; [unrolled: 1-line block ×16, first 2 shown]
	v_mul_u32_u24_sdwa v78, v106, v48 dst_sel:DWORD dst_unused:UNUSED_PAD src0_sel:WORD_0 src1_sel:DWORD
	v_mul_u32_u24_sdwa v91, v106, v48 dst_sel:DWORD dst_unused:UNUSED_PAD src0_sel:WORD_1 src1_sel:DWORD
	v_pk_fma_f16 v72, v92, v70, v72
	v_pk_fma_f16 v79, v92, v77, v79
	;; [unrolled: 1-line block ×17, first 2 shown]
	v_mul_u32_u24_sdwa v70, v105, v48 dst_sel:DWORD dst_unused:UNUSED_PAD src0_sel:WORD_0 src1_sel:DWORD
	v_mul_u32_u24_sdwa v77, v105, v48 dst_sel:DWORD dst_unused:UNUSED_PAD src0_sel:WORD_1 src1_sel:DWORD
	v_pk_fma_f16 v8, v98, v87, v8
	v_pk_fma_f16 v56, v107, v91, v56
	;; [unrolled: 1-line block ×7, first 2 shown]
	v_mul_u32_u24_sdwa v89, v140, v48 dst_sel:DWORD dst_unused:UNUSED_PAD src0_sel:WORD_1 src1_sel:DWORD
	v_pk_fma_f16 v67, v107, v70, v67
	v_pk_fma_f16 v62, v107, v77, v62
	;; [unrolled: 1-line block ×19, first 2 shown]
	v_mul_u32_u24_sdwa v70, v139, v48 dst_sel:DWORD dst_unused:UNUSED_PAD src0_sel:WORD_0 src1_sel:DWORD
	v_mul_u32_u24_sdwa v77, v139, v48 dst_sel:DWORD dst_unused:UNUSED_PAD src0_sel:WORD_1 src1_sel:DWORD
	v_pk_fma_f16 v8, v114, v91, v8
	v_pk_fma_f16 v56, v115, v89, v56
	;; [unrolled: 1-line block ×5, first 2 shown]
	v_mul_u32_u24_sdwa v91, v142, v48 dst_sel:DWORD dst_unused:UNUSED_PAD src0_sel:WORD_1 src1_sel:DWORD
	v_pk_fma_f16 v67, v115, v70, v67
	v_pk_fma_f16 v62, v115, v77, v62
	;; [unrolled: 1-line block ×19, first 2 shown]
	v_mul_u32_u24_sdwa v70, v141, v48 dst_sel:DWORD dst_unused:UNUSED_PAD src0_sel:WORD_0 src1_sel:DWORD
	v_mul_u32_u24_sdwa v77, v141, v48 dst_sel:DWORD dst_unused:UNUSED_PAD src0_sel:WORD_1 src1_sel:DWORD
	v_pk_fma_f16 v8, v122, v89, v8
	v_pk_fma_f16 v56, v123, v91, v56
	;; [unrolled: 1-line block ×5, first 2 shown]
	v_mul_u32_u24_sdwa v89, v144, v48 dst_sel:DWORD dst_unused:UNUSED_PAD src0_sel:WORD_1 src1_sel:DWORD
	v_pk_fma_f16 v67, v123, v70, v67
	v_pk_fma_f16 v62, v123, v77, v62
	;; [unrolled: 1-line block ×17, first 2 shown]
	v_mul_u32_u24_sdwa v70, v143, v48 dst_sel:DWORD dst_unused:UNUSED_PAD src0_sel:WORD_0 src1_sel:DWORD
	v_mul_u32_u24_sdwa v77, v143, v48 dst_sel:DWORD dst_unused:UNUSED_PAD src0_sel:WORD_1 src1_sel:DWORD
	v_pk_fma_f16 v56, v131, v89, v56
	v_pk_fma_f16 v57, v132, v89, v57
	;; [unrolled: 1-line block ×4, first 2 shown]
	v_mul_u32_u24_sdwa v93, v146, v48 dst_sel:DWORD dst_unused:UNUSED_PAD src0_sel:WORD_1 src1_sel:DWORD
	v_pk_fma_f16 v71, v107, v78, v71
	v_pk_fma_f16 v82, v108, v78, v82
	v_pk_fma_f16 v83, v109, v78, v83
	v_pk_fma_f16 v86, v112, v78, v86
	v_pk_fma_f16 v60, v113, v78, v60
	v_pk_fma_f16 v69, v114, v78, v69
	v_mul_u32_u24_sdwa v78, v140, v48 dst_sel:DWORD dst_unused:UNUSED_PAD src0_sel:WORD_0 src1_sel:DWORD
	v_pk_fma_f16 v65, v128, v91, v65
	v_pk_fma_f16 v61, v129, v91, v61
	;; [unrolled: 1-line block ×13, first 2 shown]
	v_mul_u32_u24_sdwa v77, v145, v48 dst_sel:DWORD dst_unused:UNUSED_PAD src0_sel:WORD_0 src1_sel:DWORD
	v_pk_fma_f16 v95, v147, v93, v56
	v_pk_fma_f16 v98, v148, v93, v57
	;; [unrolled: 1-line block ×4, first 2 shown]
	s_waitcnt vmcnt(3)
	ds_write_b128 v43, v[155:158]
	s_waitcnt vmcnt(2)
	ds_write_b128 v44, v[159:162]
	;; [unrolled: 2-line block ×4, first 2 shown]
	s_waitcnt lgkmcnt(0)
	s_barrier
	buffer_gl0_inv
	ds_read_b128 v[56:59], v42 offset:512
	v_pk_fma_f16 v71, v115, v78, v71
	v_pk_fma_f16 v82, v116, v78, v82
	;; [unrolled: 1-line block ×8, first 2 shown]
	v_mul_u32_u24_sdwa v78, v142, v48 dst_sel:DWORD dst_unused:UNUSED_PAD src0_sel:WORD_0 src1_sel:DWORD
	v_pk_fma_f16 v72, v132, v70, v72
	v_pk_fma_f16 v73, v133, v70, v73
	;; [unrolled: 1-line block ×12, first 2 shown]
	ds_read2_b64 v[64:67], v63 offset1:32
	v_pk_fma_f16 v71, v123, v78, v71
	v_pk_fma_f16 v82, v124, v78, v82
	;; [unrolled: 1-line block ×8, first 2 shown]
	v_mul_u32_u24_sdwa v78, v144, v48 dst_sel:DWORD dst_unused:UNUSED_PAD src0_sel:WORD_0 src1_sel:DWORD
	v_mul_u32_u24_sdwa v92, v146, v48 dst_sel:DWORD dst_unused:UNUSED_PAD src0_sel:WORD_0 src1_sel:DWORD
	v_pk_fma_f16 v96, v148, v77, v72
	v_pk_fma_f16 v99, v149, v77, v73
	;; [unrolled: 1-line block ×11, first 2 shown]
	v_mul_u32_u24_sdwa v78, v145, v48 dst_sel:DWORD dst_unused:UNUSED_PAD src0_sel:WORD_1 src1_sel:DWORD
	v_pk_fma_f16 v94, v147, v92, v71
	v_pk_fma_f16 v82, v148, v92, v82
	;; [unrolled: 1-line block ×8, first 2 shown]
	s_waitcnt lgkmcnt(1)
	v_mul_u32_u24_sdwa v111, v56, v48 dst_sel:DWORD dst_unused:UNUSED_PAD src0_sel:WORD_0 src1_sel:DWORD
	v_mul_u32_u24_sdwa v56, v56, v48 dst_sel:DWORD dst_unused:UNUSED_PAD src0_sel:WORD_1 src1_sel:DWORD
	v_mul_u32_u24_sdwa v112, v57, v48 dst_sel:DWORD dst_unused:UNUSED_PAD src0_sel:WORD_0 src1_sel:DWORD
	v_mul_u32_u24_sdwa v57, v57, v48 dst_sel:DWORD dst_unused:UNUSED_PAD src0_sel:WORD_1 src1_sel:DWORD
	v_pk_fma_f16 v103, v151, v77, v75
	v_pk_fma_f16 v88, v151, v92, v88
	;; [unrolled: 1-line block ×7, first 2 shown]
	ds_read2_b64 v[68:71], v63 offset0:64 offset1:96
	ds_read_b128 v[72:75], v42 offset:528
	v_pk_fma_f16 v85, v151, v78, v85
	v_pk_fma_f16 v106, v152, v78, v76
	;; [unrolled: 1-line block ×8, first 2 shown]
	ds_read_b128 v[76:79], v42 offset:544
	ds_read_b128 v[5:8], v42 offset:560
	s_waitcnt lgkmcnt(4)
	v_pk_fma_f16 v89, v64, v111, v89
	v_pk_fma_f16 v62, v64, v56, v62
	;; [unrolled: 1-line block ×16, first 2 shown]
	ds_read2_b64 v[64:67], v63 offset0:128 offset1:160
	s_waitcnt lgkmcnt(4)
	v_pk_fma_f16 v103, v68, v111, v103
	v_pk_fma_f16 v116, v68, v56, v85
	;; [unrolled: 1-line block ×14, first 2 shown]
	ds_read2_b64 v[82:85], v63 offset0:192 offset1:224
	v_mul_u32_u24_sdwa v108, v58, v48 dst_sel:DWORD dst_unused:UNUSED_PAD src0_sel:WORD_0 src1_sel:DWORD
	v_mul_u32_u24_sdwa v109, v58, v48 dst_sel:DWORD dst_unused:UNUSED_PAD src0_sel:WORD_1 src1_sel:DWORD
	v_mul_u32_u24_sdwa v110, v59, v48 dst_sel:DWORD dst_unused:UNUSED_PAD src0_sel:WORD_0 src1_sel:DWORD
	v_mul_u32_u24_sdwa v111, v59, v48 dst_sel:DWORD dst_unused:UNUSED_PAD src0_sel:WORD_1 src1_sel:DWORD
	v_pk_fma_f16 v92, v71, v112, v92
	v_pk_fma_f16 v71, v71, v57, v93
	s_waitcnt lgkmcnt(1)
	v_pk_fma_f16 v89, v64, v108, v89
	v_pk_fma_f16 v62, v64, v109, v62
	;; [unrolled: 1-line block ×16, first 2 shown]
	ds_read2_b64 v[56:59], v53 offset1:32
	ds_read2_b64 v[64:67], v53 offset0:64 offset1:96
	s_waitcnt lgkmcnt(2)
	v_pk_fma_f16 v103, v82, v108, v103
	v_pk_fma_f16 v114, v82, v109, v116
	;; [unrolled: 1-line block ×13, first 2 shown]
	v_mul_u32_u24_sdwa v105, v72, v48 dst_sel:DWORD dst_unused:UNUSED_PAD src0_sel:WORD_0 src1_sel:DWORD
	v_mul_u32_u24_sdwa v72, v72, v48 dst_sel:DWORD dst_unused:UNUSED_PAD src0_sel:WORD_1 src1_sel:DWORD
	v_mul_u32_u24_sdwa v106, v73, v48 dst_sel:DWORD dst_unused:UNUSED_PAD src0_sel:WORD_0 src1_sel:DWORD
	v_mul_u32_u24_sdwa v73, v73, v48 dst_sel:DWORD dst_unused:UNUSED_PAD src0_sel:WORD_1 src1_sel:DWORD
	v_pk_fma_f16 v84, v85, v109, v107
	v_pk_fma_f16 v92, v85, v110, v92
	;; [unrolled: 1-line block ×3, first 2 shown]
	s_waitcnt lgkmcnt(1)
	v_pk_fma_f16 v89, v56, v105, v89
	v_pk_fma_f16 v62, v56, v72, v62
	;; [unrolled: 1-line block ×16, first 2 shown]
	s_waitcnt lgkmcnt(0)
	v_pk_fma_f16 v103, v64, v105, v103
	v_pk_fma_f16 v109, v64, v72, v114
	ds_read2_b64 v[56:59], v53 offset0:128 offset1:160
	v_pk_fma_f16 v88, v64, v106, v88
	v_pk_fma_f16 v64, v64, v73, v68
	;; [unrolled: 1-line block ×11, first 2 shown]
	ds_read2_b64 v[68:71], v53 offset0:192 offset1:224
	v_pk_fma_f16 v72, v67, v72, v84
	v_pk_fma_f16 v84, v67, v106, v92
	v_mul_u32_u24_sdwa v92, v74, v48 dst_sel:DWORD dst_unused:UNUSED_PAD src0_sel:WORD_0 src1_sel:DWORD
	v_mul_u32_u24_sdwa v74, v74, v48 dst_sel:DWORD dst_unused:UNUSED_PAD src0_sel:WORD_1 src1_sel:DWORD
	v_mul_u32_u24_sdwa v105, v75, v48 dst_sel:DWORD dst_unused:UNUSED_PAD src0_sel:WORD_0 src1_sel:DWORD
	v_mul_u32_u24_sdwa v75, v75, v48 dst_sel:DWORD dst_unused:UNUSED_PAD src0_sel:WORD_1 src1_sel:DWORD
	v_pk_fma_f16 v73, v67, v73, v85
	s_waitcnt lgkmcnt(1)
	v_pk_fma_f16 v85, v56, v92, v89
	v_pk_fma_f16 v62, v56, v74, v62
	;; [unrolled: 1-line block ×16, first 2 shown]
	s_waitcnt lgkmcnt(0)
	v_pk_fma_f16 v103, v68, v92, v103
	v_pk_fma_f16 v107, v68, v74, v109
	ds_read2_b64 v[56:59], v54 offset1:32
	v_pk_fma_f16 v88, v68, v105, v88
	v_pk_fma_f16 v68, v68, v75, v64
	;; [unrolled: 1-line block ×11, first 2 shown]
	ds_read2_b64 v[64:67], v54 offset0:64 offset1:96
	v_pk_fma_f16 v72, v71, v74, v72
	v_pk_fma_f16 v74, v71, v105, v84
	v_mul_u32_u24_sdwa v84, v76, v48 dst_sel:DWORD dst_unused:UNUSED_PAD src0_sel:WORD_0 src1_sel:DWORD
	v_mul_u32_u24_sdwa v76, v76, v48 dst_sel:DWORD dst_unused:UNUSED_PAD src0_sel:WORD_1 src1_sel:DWORD
	v_mul_u32_u24_sdwa v92, v77, v48 dst_sel:DWORD dst_unused:UNUSED_PAD src0_sel:WORD_0 src1_sel:DWORD
	v_mul_u32_u24_sdwa v77, v77, v48 dst_sel:DWORD dst_unused:UNUSED_PAD src0_sel:WORD_1 src1_sel:DWORD
	v_pk_fma_f16 v73, v71, v75, v73
	s_waitcnt lgkmcnt(1)
	v_pk_fma_f16 v75, v56, v84, v85
	v_pk_fma_f16 v62, v56, v76, v62
	;; [unrolled: 1-line block ×16, first 2 shown]
	s_waitcnt lgkmcnt(0)
	v_pk_fma_f16 v103, v64, v84, v103
	v_pk_fma_f16 v105, v64, v76, v107
	ds_read2_b64 v[56:59], v54 offset0:128 offset1:160
	v_pk_fma_f16 v88, v64, v92, v88
	v_pk_fma_f16 v64, v64, v77, v68
	;; [unrolled: 1-line block ×11, first 2 shown]
	ds_read2_b64 v[68:71], v54 offset0:192 offset1:224
	v_pk_fma_f16 v72, v67, v76, v72
	v_mul_u32_u24_sdwa v76, v78, v48 dst_sel:DWORD dst_unused:UNUSED_PAD src0_sel:WORD_0 src1_sel:DWORD
	v_mul_u32_u24_sdwa v78, v78, v48 dst_sel:DWORD dst_unused:UNUSED_PAD src0_sel:WORD_1 src1_sel:DWORD
	v_mul_u32_u24_sdwa v84, v79, v48 dst_sel:DWORD dst_unused:UNUSED_PAD src0_sel:WORD_0 src1_sel:DWORD
	v_mul_u32_u24_sdwa v79, v79, v48 dst_sel:DWORD dst_unused:UNUSED_PAD src0_sel:WORD_1 src1_sel:DWORD
	v_pk_fma_f16 v74, v67, v92, v74
	v_pk_fma_f16 v73, v67, v77, v73
	s_waitcnt lgkmcnt(1)
	v_pk_fma_f16 v75, v56, v76, v75
	v_pk_fma_f16 v62, v56, v78, v62
	;; [unrolled: 1-line block ×16, first 2 shown]
	s_waitcnt lgkmcnt(0)
	v_pk_fma_f16 v101, v68, v76, v103
	v_pk_fma_f16 v102, v68, v78, v105
	ds_read2_b64 v[56:59], v55 offset1:32
	v_pk_fma_f16 v88, v68, v84, v88
	v_pk_fma_f16 v68, v68, v79, v64
	;; [unrolled: 1-line block ×7, first 2 shown]
	ds_read2_b64 v[64:67], v55 offset0:64 offset1:96
	s_or_b32 s0, s8, 0x50
	v_mul_u32_u24_sdwa v178, v5, v48 dst_sel:DWORD dst_unused:UNUSED_PAD src0_sel:WORD_0 src1_sel:DWORD
	s_mul_hi_i32 s25, s0, s9
	s_mul_i32 s24, s0, s9
	v_mul_u32_u24_sdwa v179, v5, v48 dst_sel:DWORD dst_unused:UNUSED_PAD src0_sel:WORD_1 src1_sel:DWORD
	s_lshl_b64 s[24:25], s[24:25], 2
	v_pk_fma_f16 v173, v70, v84, v60
	s_add_u32 s0, s12, s24
	s_addc_u32 s19, s13, s25
	v_add_co_u32 v5, vcc_lo, s0, v27
	v_mul_u32_u24_sdwa v180, v6, v48 dst_sel:DWORD dst_unused:UNUSED_PAD src0_sel:WORD_0 src1_sel:DWORD
	v_mul_u32_u24_sdwa v181, v6, v48 dst_sel:DWORD dst_unused:UNUSED_PAD src0_sel:WORD_1 src1_sel:DWORD
	v_add_co_ci_u32_e64 v6, null, s19, v28, vcc_lo
	v_add_co_u32 v60, vcc_lo, s0, v29
	v_pk_fma_f16 v174, v70, v79, v61
	v_add_co_ci_u32_e64 v61, null, s19, v30, vcc_lo
	v_add_co_u32 v5, vcc_lo, v5, v90
	v_add_co_ci_u32_e64 v6, null, 0, v6, vcc_lo
	v_add_co_u32 v60, vcc_lo, v60, v90
	v_add_co_ci_u32_e64 v61, null, 0, v61, vcc_lo
	v_pk_fma_f16 v171, v70, v76, v83
	v_pk_fma_f16 v172, v70, v78, v91
	;; [unrolled: 1-line block ×5, first 2 shown]
	s_waitcnt lgkmcnt(1)
	v_pk_fma_f16 v183, v56, v178, v75
	v_pk_fma_f16 v62, v56, v179, v62
	;; [unrolled: 1-line block ×16, first 2 shown]
	s_waitcnt lgkmcnt(0)
	v_pk_fma_f16 v197, v64, v178, v101
	v_pk_fma_f16 v198, v64, v179, v102
	;; [unrolled: 1-line block ×8, first 2 shown]
	ds_read2_b64 v[56:59], v55 offset0:128 offset1:160
	ds_read2_b64 v[68:71], v55 offset0:192 offset1:224
	ds_read2_b64 v[72:75], v52 offset1:32
	ds_read2_b64 v[76:79], v52 offset0:64 offset1:96
	ds_read2_b64 v[82:85], v52 offset0:128 offset1:160
	;; [unrolled: 1-line block ×3, first 2 shown]
	ds_read2_b64 v[91:94], v51 offset1:32
	ds_read2_b64 v[95:98], v51 offset0:64 offset1:96
	ds_read_b128 v[99:102], v42 offset:576
	ds_read_b128 v[103:106], v42 offset:592
	ds_read2_b64 v[107:110], v51 offset0:128 offset1:160
	ds_read2_b64 v[111:114], v51 offset0:192 offset1:224
	ds_read2_b64 v[115:118], v50 offset1:32
	ds_read2_b64 v[119:122], v50 offset0:64 offset1:96
	ds_read2_b64 v[123:126], v50 offset0:128 offset1:160
	ds_read2_b64 v[127:130], v50 offset0:192 offset1:224
	ds_read2_b64 v[131:134], v49 offset1:32
	ds_read2_b64 v[135:138], v49 offset0:64 offset1:96
	ds_read_b128 v[139:142], v42 offset:608
	ds_read_b128 v[143:146], v42 offset:624
	ds_read2_b64 v[147:150], v49 offset0:128 offset1:160
	ds_read2_b64 v[151:154], v49 offset0:192 offset1:224
	s_waitcnt lgkmcnt(0)
	s_barrier
	buffer_gl0_inv
	s_clause 0x3
	global_load_dwordx4 v[155:158], v[5:6], off
	global_load_dwordx4 v[159:162], v[5:6], off offset:512
	global_load_dwordx4 v[163:166], v[60:61], off
	global_load_dwordx4 v[167:170], v[60:61], off offset:512
	v_pk_fma_f16 v5, v66, v178, v171
	v_pk_fma_f16 v6, v66, v179, v172
	v_pk_fma_f16 v60, v66, v180, v173
	v_pk_fma_f16 v61, v66, v181, v174
	v_pk_fma_f16 v66, v67, v178, v175
	v_pk_fma_f16 v171, v67, v179, v176
	v_pk_fma_f16 v172, v67, v180, v177
	v_mul_u32_u24_sdwa v173, v7, v48 dst_sel:DWORD dst_unused:UNUSED_PAD src0_sel:WORD_0 src1_sel:DWORD
	v_mul_u32_u24_sdwa v7, v7, v48 dst_sel:DWORD dst_unused:UNUSED_PAD src0_sel:WORD_1 src1_sel:DWORD
	v_mul_u32_u24_sdwa v174, v8, v48 dst_sel:DWORD dst_unused:UNUSED_PAD src0_sel:WORD_0 src1_sel:DWORD
	v_mul_u32_u24_sdwa v8, v8, v48 dst_sel:DWORD dst_unused:UNUSED_PAD src0_sel:WORD_1 src1_sel:DWORD
	v_pk_fma_f16 v67, v67, v181, v182
	v_pk_fma_f16 v175, v56, v173, v183
	v_pk_fma_f16 v62, v56, v7, v62
	v_pk_fma_f16 v176, v56, v174, v184
	v_pk_fma_f16 v56, v56, v8, v185
	v_pk_fma_f16 v177, v57, v173, v186
	v_pk_fma_f16 v178, v57, v7, v187
	v_pk_fma_f16 v179, v57, v174, v188
	v_pk_fma_f16 v57, v57, v8, v189
	v_pk_fma_f16 v180, v58, v173, v190
	v_pk_fma_f16 v80, v58, v7, v80
	v_pk_fma_f16 v181, v58, v174, v191
	v_pk_fma_f16 v58, v58, v8, v192
	v_pk_fma_f16 v182, v59, v173, v193
	v_pk_fma_f16 v183, v59, v7, v194
	v_pk_fma_f16 v184, v59, v174, v195
	v_pk_fma_f16 v59, v59, v8, v196
	v_pk_fma_f16 v185, v68, v173, v197
	v_pk_fma_f16 v186, v68, v7, v198
	v_pk_fma_f16 v187, v68, v174, v199
	v_pk_fma_f16 v64, v68, v8, v64
	v_pk_fma_f16 v68, v69, v173, v200
	v_pk_fma_f16 v188, v69, v7, v201
	v_pk_fma_f16 v189, v69, v174, v202
	v_pk_fma_f16 v65, v69, v8, v65
	v_pk_fma_f16 v5, v70, v173, v5
	v_pk_fma_f16 v6, v70, v7, v6
	v_pk_fma_f16 v60, v70, v174, v60
	v_pk_fma_f16 v61, v70, v8, v61
	v_pk_fma_f16 v66, v71, v173, v66
	v_pk_fma_f16 v7, v71, v7, v171
	v_pk_fma_f16 v69, v71, v174, v172
	v_mul_u32_u24_sdwa v70, v99, v48 dst_sel:DWORD dst_unused:UNUSED_PAD src0_sel:WORD_0 src1_sel:DWORD
	v_mul_u32_u24_sdwa v99, v99, v48 dst_sel:DWORD dst_unused:UNUSED_PAD src0_sel:WORD_1 src1_sel:DWORD
	v_mul_u32_u24_sdwa v171, v100, v48 dst_sel:DWORD dst_unused:UNUSED_PAD src0_sel:WORD_0 src1_sel:DWORD
	v_mul_u32_u24_sdwa v100, v100, v48 dst_sel:DWORD dst_unused:UNUSED_PAD src0_sel:WORD_1 src1_sel:DWORD
	v_pk_fma_f16 v8, v71, v8, v67
	v_pk_fma_f16 v67, v72, v70, v175
	v_pk_fma_f16 v62, v72, v99, v62
	v_pk_fma_f16 v71, v72, v171, v176
	v_pk_fma_f16 v56, v72, v100, v56
	v_pk_fma_f16 v72, v73, v70, v177
	v_pk_fma_f16 v172, v73, v99, v178
	v_pk_fma_f16 v173, v73, v171, v179
	v_pk_fma_f16 v57, v73, v100, v57
	v_pk_fma_f16 v73, v74, v70, v180
	v_pk_fma_f16 v80, v74, v99, v80
	v_pk_fma_f16 v174, v74, v171, v181
	v_pk_fma_f16 v58, v74, v100, v58
	v_pk_fma_f16 v74, v75, v70, v182
	v_pk_fma_f16 v175, v75, v99, v183
	v_pk_fma_f16 v176, v75, v171, v184
	v_pk_fma_f16 v59, v75, v100, v59
	v_pk_fma_f16 v75, v76, v70, v185
	v_pk_fma_f16 v177, v76, v99, v186
	v_pk_fma_f16 v178, v76, v171, v187
	v_pk_fma_f16 v64, v76, v100, v64
	v_pk_fma_f16 v68, v77, v70, v68
	v_pk_fma_f16 v76, v77, v99, v188
	v_pk_fma_f16 v179, v77, v171, v189
	v_pk_fma_f16 v65, v77, v100, v65
	;; [unrolled: 36-line block ×3, first 2 shown]
	v_pk_fma_f16 v5, v88, v70, v5
	v_pk_fma_f16 v6, v88, v77, v6
	;; [unrolled: 1-line block ×6, first 2 shown]
	v_mul_u32_u24_sdwa v70, v103, v48 dst_sel:DWORD dst_unused:UNUSED_PAD src0_sel:WORD_0 src1_sel:DWORD
	v_mul_u32_u24_sdwa v77, v103, v48 dst_sel:DWORD dst_unused:UNUSED_PAD src0_sel:WORD_1 src1_sel:DWORD
	v_mul_u32_u24_sdwa v78, v104, v48 dst_sel:DWORD dst_unused:UNUSED_PAD src0_sel:WORD_0 src1_sel:DWORD
	v_mul_u32_u24_sdwa v87, v104, v48 dst_sel:DWORD dst_unused:UNUSED_PAD src0_sel:WORD_1 src1_sel:DWORD
	v_pk_fma_f16 v61, v88, v99, v61
	v_pk_fma_f16 v8, v89, v99, v8
	;; [unrolled: 1-line block ×16, first 2 shown]
	v_mul_u32_u24_sdwa v78, v106, v48 dst_sel:DWORD dst_unused:UNUSED_PAD src0_sel:WORD_0 src1_sel:DWORD
	v_mul_u32_u24_sdwa v91, v106, v48 dst_sel:DWORD dst_unused:UNUSED_PAD src0_sel:WORD_1 src1_sel:DWORD
	v_pk_fma_f16 v72, v92, v70, v72
	v_pk_fma_f16 v79, v92, v77, v79
	;; [unrolled: 1-line block ×17, first 2 shown]
	v_mul_u32_u24_sdwa v70, v105, v48 dst_sel:DWORD dst_unused:UNUSED_PAD src0_sel:WORD_0 src1_sel:DWORD
	v_mul_u32_u24_sdwa v77, v105, v48 dst_sel:DWORD dst_unused:UNUSED_PAD src0_sel:WORD_1 src1_sel:DWORD
	v_pk_fma_f16 v8, v98, v87, v8
	v_pk_fma_f16 v56, v107, v91, v56
	;; [unrolled: 1-line block ×7, first 2 shown]
	v_mul_u32_u24_sdwa v89, v140, v48 dst_sel:DWORD dst_unused:UNUSED_PAD src0_sel:WORD_1 src1_sel:DWORD
	v_pk_fma_f16 v67, v107, v70, v67
	v_pk_fma_f16 v62, v107, v77, v62
	;; [unrolled: 1-line block ×19, first 2 shown]
	v_mul_u32_u24_sdwa v70, v139, v48 dst_sel:DWORD dst_unused:UNUSED_PAD src0_sel:WORD_0 src1_sel:DWORD
	v_mul_u32_u24_sdwa v77, v139, v48 dst_sel:DWORD dst_unused:UNUSED_PAD src0_sel:WORD_1 src1_sel:DWORD
	v_pk_fma_f16 v8, v114, v91, v8
	v_pk_fma_f16 v56, v115, v89, v56
	;; [unrolled: 1-line block ×5, first 2 shown]
	v_mul_u32_u24_sdwa v91, v142, v48 dst_sel:DWORD dst_unused:UNUSED_PAD src0_sel:WORD_1 src1_sel:DWORD
	v_pk_fma_f16 v67, v115, v70, v67
	v_pk_fma_f16 v62, v115, v77, v62
	;; [unrolled: 1-line block ×19, first 2 shown]
	v_mul_u32_u24_sdwa v70, v141, v48 dst_sel:DWORD dst_unused:UNUSED_PAD src0_sel:WORD_0 src1_sel:DWORD
	v_mul_u32_u24_sdwa v77, v141, v48 dst_sel:DWORD dst_unused:UNUSED_PAD src0_sel:WORD_1 src1_sel:DWORD
	v_pk_fma_f16 v8, v122, v89, v8
	v_pk_fma_f16 v56, v123, v91, v56
	;; [unrolled: 1-line block ×5, first 2 shown]
	v_mul_u32_u24_sdwa v89, v144, v48 dst_sel:DWORD dst_unused:UNUSED_PAD src0_sel:WORD_1 src1_sel:DWORD
	v_pk_fma_f16 v67, v123, v70, v67
	v_pk_fma_f16 v62, v123, v77, v62
	;; [unrolled: 1-line block ×17, first 2 shown]
	v_mul_u32_u24_sdwa v70, v143, v48 dst_sel:DWORD dst_unused:UNUSED_PAD src0_sel:WORD_0 src1_sel:DWORD
	v_mul_u32_u24_sdwa v77, v143, v48 dst_sel:DWORD dst_unused:UNUSED_PAD src0_sel:WORD_1 src1_sel:DWORD
	v_pk_fma_f16 v56, v131, v89, v56
	v_pk_fma_f16 v57, v132, v89, v57
	;; [unrolled: 1-line block ×4, first 2 shown]
	v_mul_u32_u24_sdwa v93, v146, v48 dst_sel:DWORD dst_unused:UNUSED_PAD src0_sel:WORD_1 src1_sel:DWORD
	v_pk_fma_f16 v71, v107, v78, v71
	v_pk_fma_f16 v82, v108, v78, v82
	;; [unrolled: 1-line block ×6, first 2 shown]
	v_mul_u32_u24_sdwa v78, v140, v48 dst_sel:DWORD dst_unused:UNUSED_PAD src0_sel:WORD_0 src1_sel:DWORD
	v_pk_fma_f16 v65, v128, v91, v65
	v_pk_fma_f16 v61, v129, v91, v61
	;; [unrolled: 1-line block ×13, first 2 shown]
	v_mul_u32_u24_sdwa v77, v145, v48 dst_sel:DWORD dst_unused:UNUSED_PAD src0_sel:WORD_0 src1_sel:DWORD
	v_pk_fma_f16 v95, v147, v93, v56
	v_pk_fma_f16 v98, v148, v93, v57
	;; [unrolled: 1-line block ×4, first 2 shown]
	s_waitcnt vmcnt(3)
	ds_write_b128 v43, v[155:158]
	s_waitcnt vmcnt(2)
	ds_write_b128 v44, v[159:162]
	;; [unrolled: 2-line block ×4, first 2 shown]
	s_waitcnt lgkmcnt(0)
	s_barrier
	buffer_gl0_inv
	ds_read_b128 v[56:59], v42 offset:640
	v_pk_fma_f16 v71, v115, v78, v71
	v_pk_fma_f16 v82, v116, v78, v82
	;; [unrolled: 1-line block ×8, first 2 shown]
	v_mul_u32_u24_sdwa v78, v142, v48 dst_sel:DWORD dst_unused:UNUSED_PAD src0_sel:WORD_0 src1_sel:DWORD
	v_pk_fma_f16 v72, v132, v70, v72
	v_pk_fma_f16 v73, v133, v70, v73
	;; [unrolled: 1-line block ×12, first 2 shown]
	ds_read2_b64 v[64:67], v63 offset1:32
	v_pk_fma_f16 v71, v123, v78, v71
	v_pk_fma_f16 v82, v124, v78, v82
	;; [unrolled: 1-line block ×8, first 2 shown]
	v_mul_u32_u24_sdwa v78, v144, v48 dst_sel:DWORD dst_unused:UNUSED_PAD src0_sel:WORD_0 src1_sel:DWORD
	v_mul_u32_u24_sdwa v92, v146, v48 dst_sel:DWORD dst_unused:UNUSED_PAD src0_sel:WORD_0 src1_sel:DWORD
	v_pk_fma_f16 v96, v148, v77, v72
	v_pk_fma_f16 v99, v149, v77, v73
	;; [unrolled: 1-line block ×11, first 2 shown]
	v_mul_u32_u24_sdwa v78, v145, v48 dst_sel:DWORD dst_unused:UNUSED_PAD src0_sel:WORD_1 src1_sel:DWORD
	v_pk_fma_f16 v94, v147, v92, v71
	v_pk_fma_f16 v82, v148, v92, v82
	;; [unrolled: 1-line block ×8, first 2 shown]
	s_waitcnt lgkmcnt(1)
	v_mul_u32_u24_sdwa v111, v56, v48 dst_sel:DWORD dst_unused:UNUSED_PAD src0_sel:WORD_0 src1_sel:DWORD
	v_mul_u32_u24_sdwa v56, v56, v48 dst_sel:DWORD dst_unused:UNUSED_PAD src0_sel:WORD_1 src1_sel:DWORD
	v_mul_u32_u24_sdwa v112, v57, v48 dst_sel:DWORD dst_unused:UNUSED_PAD src0_sel:WORD_0 src1_sel:DWORD
	v_mul_u32_u24_sdwa v57, v57, v48 dst_sel:DWORD dst_unused:UNUSED_PAD src0_sel:WORD_1 src1_sel:DWORD
	v_pk_fma_f16 v103, v151, v77, v75
	v_pk_fma_f16 v88, v151, v92, v88
	;; [unrolled: 1-line block ×7, first 2 shown]
	ds_read2_b64 v[68:71], v63 offset0:64 offset1:96
	ds_read_b128 v[72:75], v42 offset:656
	v_pk_fma_f16 v85, v151, v78, v85
	v_pk_fma_f16 v106, v152, v78, v76
	;; [unrolled: 1-line block ×8, first 2 shown]
	ds_read_b128 v[76:79], v42 offset:672
	ds_read_b128 v[5:8], v42 offset:688
	s_waitcnt lgkmcnt(4)
	v_pk_fma_f16 v89, v64, v111, v89
	v_pk_fma_f16 v62, v64, v56, v62
	;; [unrolled: 1-line block ×16, first 2 shown]
	ds_read2_b64 v[64:67], v63 offset0:128 offset1:160
	s_waitcnt lgkmcnt(4)
	v_pk_fma_f16 v103, v68, v111, v103
	v_pk_fma_f16 v116, v68, v56, v85
	;; [unrolled: 1-line block ×14, first 2 shown]
	ds_read2_b64 v[82:85], v63 offset0:192 offset1:224
	v_mul_u32_u24_sdwa v108, v58, v48 dst_sel:DWORD dst_unused:UNUSED_PAD src0_sel:WORD_0 src1_sel:DWORD
	v_mul_u32_u24_sdwa v109, v58, v48 dst_sel:DWORD dst_unused:UNUSED_PAD src0_sel:WORD_1 src1_sel:DWORD
	v_mul_u32_u24_sdwa v110, v59, v48 dst_sel:DWORD dst_unused:UNUSED_PAD src0_sel:WORD_0 src1_sel:DWORD
	v_mul_u32_u24_sdwa v111, v59, v48 dst_sel:DWORD dst_unused:UNUSED_PAD src0_sel:WORD_1 src1_sel:DWORD
	v_pk_fma_f16 v92, v71, v112, v92
	v_pk_fma_f16 v71, v71, v57, v93
	s_waitcnt lgkmcnt(1)
	v_pk_fma_f16 v89, v64, v108, v89
	v_pk_fma_f16 v62, v64, v109, v62
	;; [unrolled: 1-line block ×16, first 2 shown]
	ds_read2_b64 v[56:59], v53 offset1:32
	ds_read2_b64 v[64:67], v53 offset0:64 offset1:96
	s_waitcnt lgkmcnt(2)
	v_pk_fma_f16 v103, v82, v108, v103
	v_pk_fma_f16 v114, v82, v109, v116
	;; [unrolled: 1-line block ×13, first 2 shown]
	v_mul_u32_u24_sdwa v105, v72, v48 dst_sel:DWORD dst_unused:UNUSED_PAD src0_sel:WORD_0 src1_sel:DWORD
	v_mul_u32_u24_sdwa v72, v72, v48 dst_sel:DWORD dst_unused:UNUSED_PAD src0_sel:WORD_1 src1_sel:DWORD
	v_mul_u32_u24_sdwa v106, v73, v48 dst_sel:DWORD dst_unused:UNUSED_PAD src0_sel:WORD_0 src1_sel:DWORD
	v_mul_u32_u24_sdwa v73, v73, v48 dst_sel:DWORD dst_unused:UNUSED_PAD src0_sel:WORD_1 src1_sel:DWORD
	v_pk_fma_f16 v84, v85, v109, v107
	v_pk_fma_f16 v92, v85, v110, v92
	;; [unrolled: 1-line block ×3, first 2 shown]
	s_waitcnt lgkmcnt(1)
	v_pk_fma_f16 v89, v56, v105, v89
	v_pk_fma_f16 v62, v56, v72, v62
	;; [unrolled: 1-line block ×16, first 2 shown]
	s_waitcnt lgkmcnt(0)
	v_pk_fma_f16 v103, v64, v105, v103
	v_pk_fma_f16 v109, v64, v72, v114
	ds_read2_b64 v[56:59], v53 offset0:128 offset1:160
	v_pk_fma_f16 v88, v64, v106, v88
	v_pk_fma_f16 v64, v64, v73, v68
	;; [unrolled: 1-line block ×11, first 2 shown]
	ds_read2_b64 v[68:71], v53 offset0:192 offset1:224
	v_pk_fma_f16 v72, v67, v72, v84
	v_pk_fma_f16 v84, v67, v106, v92
	v_mul_u32_u24_sdwa v92, v74, v48 dst_sel:DWORD dst_unused:UNUSED_PAD src0_sel:WORD_0 src1_sel:DWORD
	v_mul_u32_u24_sdwa v74, v74, v48 dst_sel:DWORD dst_unused:UNUSED_PAD src0_sel:WORD_1 src1_sel:DWORD
	v_mul_u32_u24_sdwa v105, v75, v48 dst_sel:DWORD dst_unused:UNUSED_PAD src0_sel:WORD_0 src1_sel:DWORD
	v_mul_u32_u24_sdwa v75, v75, v48 dst_sel:DWORD dst_unused:UNUSED_PAD src0_sel:WORD_1 src1_sel:DWORD
	v_pk_fma_f16 v73, v67, v73, v85
	s_waitcnt lgkmcnt(1)
	v_pk_fma_f16 v85, v56, v92, v89
	v_pk_fma_f16 v62, v56, v74, v62
	;; [unrolled: 1-line block ×16, first 2 shown]
	s_waitcnt lgkmcnt(0)
	v_pk_fma_f16 v103, v68, v92, v103
	v_pk_fma_f16 v107, v68, v74, v109
	ds_read2_b64 v[56:59], v54 offset1:32
	v_pk_fma_f16 v88, v68, v105, v88
	v_pk_fma_f16 v68, v68, v75, v64
	;; [unrolled: 1-line block ×11, first 2 shown]
	ds_read2_b64 v[64:67], v54 offset0:64 offset1:96
	v_pk_fma_f16 v72, v71, v74, v72
	v_pk_fma_f16 v74, v71, v105, v84
	v_mul_u32_u24_sdwa v84, v76, v48 dst_sel:DWORD dst_unused:UNUSED_PAD src0_sel:WORD_0 src1_sel:DWORD
	v_mul_u32_u24_sdwa v76, v76, v48 dst_sel:DWORD dst_unused:UNUSED_PAD src0_sel:WORD_1 src1_sel:DWORD
	v_mul_u32_u24_sdwa v92, v77, v48 dst_sel:DWORD dst_unused:UNUSED_PAD src0_sel:WORD_0 src1_sel:DWORD
	v_mul_u32_u24_sdwa v77, v77, v48 dst_sel:DWORD dst_unused:UNUSED_PAD src0_sel:WORD_1 src1_sel:DWORD
	v_pk_fma_f16 v73, v71, v75, v73
	s_waitcnt lgkmcnt(1)
	v_pk_fma_f16 v75, v56, v84, v85
	v_pk_fma_f16 v62, v56, v76, v62
	;; [unrolled: 1-line block ×16, first 2 shown]
	s_waitcnt lgkmcnt(0)
	v_pk_fma_f16 v103, v64, v84, v103
	v_pk_fma_f16 v105, v64, v76, v107
	ds_read2_b64 v[56:59], v54 offset0:128 offset1:160
	v_pk_fma_f16 v88, v64, v92, v88
	v_pk_fma_f16 v64, v64, v77, v68
	v_pk_fma_f16 v82, v65, v84, v82
	v_pk_fma_f16 v104, v65, v76, v104
	v_pk_fma_f16 v86, v65, v92, v86
	v_pk_fma_f16 v65, v65, v77, v69
	v_pk_fma_f16 v83, v66, v84, v83
	v_pk_fma_f16 v91, v66, v76, v91
	v_pk_fma_f16 v60, v66, v92, v60
	v_pk_fma_f16 v61, v66, v77, v61
	v_pk_fma_f16 v66, v67, v84, v70
	ds_read2_b64 v[68:71], v54 offset0:192 offset1:224
	v_pk_fma_f16 v72, v67, v76, v72
	v_mul_u32_u24_sdwa v76, v78, v48 dst_sel:DWORD dst_unused:UNUSED_PAD src0_sel:WORD_0 src1_sel:DWORD
	v_mul_u32_u24_sdwa v78, v78, v48 dst_sel:DWORD dst_unused:UNUSED_PAD src0_sel:WORD_1 src1_sel:DWORD
	v_mul_u32_u24_sdwa v84, v79, v48 dst_sel:DWORD dst_unused:UNUSED_PAD src0_sel:WORD_0 src1_sel:DWORD
	v_mul_u32_u24_sdwa v79, v79, v48 dst_sel:DWORD dst_unused:UNUSED_PAD src0_sel:WORD_1 src1_sel:DWORD
	v_pk_fma_f16 v74, v67, v92, v74
	v_pk_fma_f16 v73, v67, v77, v73
	s_waitcnt lgkmcnt(1)
	v_pk_fma_f16 v75, v56, v76, v75
	v_pk_fma_f16 v62, v56, v78, v62
	;; [unrolled: 1-line block ×16, first 2 shown]
	s_waitcnt lgkmcnt(0)
	v_pk_fma_f16 v101, v68, v76, v103
	v_pk_fma_f16 v102, v68, v78, v105
	ds_read2_b64 v[56:59], v55 offset1:32
	v_pk_fma_f16 v88, v68, v84, v88
	v_pk_fma_f16 v68, v68, v79, v64
	;; [unrolled: 1-line block ×7, first 2 shown]
	ds_read2_b64 v[64:67], v55 offset0:64 offset1:96
	s_or_b32 s0, s8, 0x60
	v_mul_u32_u24_sdwa v178, v5, v48 dst_sel:DWORD dst_unused:UNUSED_PAD src0_sel:WORD_0 src1_sel:DWORD
	s_mul_hi_i32 s25, s0, s9
	s_mul_i32 s24, s0, s9
	v_mul_u32_u24_sdwa v179, v5, v48 dst_sel:DWORD dst_unused:UNUSED_PAD src0_sel:WORD_1 src1_sel:DWORD
	s_lshl_b64 s[24:25], s[24:25], 2
	v_pk_fma_f16 v173, v70, v84, v60
	s_add_u32 s0, s12, s24
	s_addc_u32 s19, s13, s25
	v_add_co_u32 v5, vcc_lo, s0, v27
	v_mul_u32_u24_sdwa v180, v6, v48 dst_sel:DWORD dst_unused:UNUSED_PAD src0_sel:WORD_0 src1_sel:DWORD
	v_mul_u32_u24_sdwa v181, v6, v48 dst_sel:DWORD dst_unused:UNUSED_PAD src0_sel:WORD_1 src1_sel:DWORD
	v_add_co_ci_u32_e64 v6, null, s19, v28, vcc_lo
	v_add_co_u32 v60, vcc_lo, s0, v29
	v_pk_fma_f16 v174, v70, v79, v61
	v_add_co_ci_u32_e64 v61, null, s19, v30, vcc_lo
	v_add_co_u32 v5, vcc_lo, v5, v90
	v_add_co_ci_u32_e64 v6, null, 0, v6, vcc_lo
	v_add_co_u32 v60, vcc_lo, v60, v90
	v_add_co_ci_u32_e64 v61, null, 0, v61, vcc_lo
	v_pk_fma_f16 v171, v70, v76, v83
	v_pk_fma_f16 v172, v70, v78, v91
	;; [unrolled: 1-line block ×5, first 2 shown]
	s_waitcnt lgkmcnt(1)
	v_pk_fma_f16 v183, v56, v178, v75
	v_pk_fma_f16 v62, v56, v179, v62
	;; [unrolled: 1-line block ×16, first 2 shown]
	s_waitcnt lgkmcnt(0)
	v_pk_fma_f16 v197, v64, v178, v101
	v_pk_fma_f16 v198, v64, v179, v102
	;; [unrolled: 1-line block ×8, first 2 shown]
	ds_read2_b64 v[56:59], v55 offset0:128 offset1:160
	ds_read2_b64 v[68:71], v55 offset0:192 offset1:224
	ds_read2_b64 v[72:75], v52 offset1:32
	ds_read2_b64 v[76:79], v52 offset0:64 offset1:96
	ds_read2_b64 v[82:85], v52 offset0:128 offset1:160
	;; [unrolled: 1-line block ×3, first 2 shown]
	ds_read2_b64 v[91:94], v51 offset1:32
	ds_read2_b64 v[95:98], v51 offset0:64 offset1:96
	ds_read_b128 v[99:102], v42 offset:704
	ds_read_b128 v[103:106], v42 offset:720
	ds_read2_b64 v[107:110], v51 offset0:128 offset1:160
	ds_read2_b64 v[111:114], v51 offset0:192 offset1:224
	ds_read2_b64 v[115:118], v50 offset1:32
	ds_read2_b64 v[119:122], v50 offset0:64 offset1:96
	ds_read2_b64 v[123:126], v50 offset0:128 offset1:160
	;; [unrolled: 1-line block ×3, first 2 shown]
	ds_read2_b64 v[131:134], v49 offset1:32
	ds_read2_b64 v[135:138], v49 offset0:64 offset1:96
	ds_read_b128 v[139:142], v42 offset:736
	ds_read_b128 v[143:146], v42 offset:752
	ds_read2_b64 v[147:150], v49 offset0:128 offset1:160
	ds_read2_b64 v[151:154], v49 offset0:192 offset1:224
	s_waitcnt lgkmcnt(0)
	s_barrier
	buffer_gl0_inv
	s_clause 0x3
	global_load_dwordx4 v[155:158], v[5:6], off
	global_load_dwordx4 v[159:162], v[5:6], off offset:512
	global_load_dwordx4 v[163:166], v[60:61], off
	global_load_dwordx4 v[167:170], v[60:61], off offset:512
	v_pk_fma_f16 v5, v66, v178, v171
	v_pk_fma_f16 v6, v66, v179, v172
	v_pk_fma_f16 v60, v66, v180, v173
	v_pk_fma_f16 v61, v66, v181, v174
	v_pk_fma_f16 v66, v67, v178, v175
	v_pk_fma_f16 v171, v67, v179, v176
	v_pk_fma_f16 v172, v67, v180, v177
	v_mul_u32_u24_sdwa v173, v7, v48 dst_sel:DWORD dst_unused:UNUSED_PAD src0_sel:WORD_0 src1_sel:DWORD
	v_mul_u32_u24_sdwa v7, v7, v48 dst_sel:DWORD dst_unused:UNUSED_PAD src0_sel:WORD_1 src1_sel:DWORD
	v_mul_u32_u24_sdwa v174, v8, v48 dst_sel:DWORD dst_unused:UNUSED_PAD src0_sel:WORD_0 src1_sel:DWORD
	v_mul_u32_u24_sdwa v8, v8, v48 dst_sel:DWORD dst_unused:UNUSED_PAD src0_sel:WORD_1 src1_sel:DWORD
	v_pk_fma_f16 v67, v67, v181, v182
	v_pk_fma_f16 v175, v56, v173, v183
	v_pk_fma_f16 v62, v56, v7, v62
	v_pk_fma_f16 v176, v56, v174, v184
	v_pk_fma_f16 v56, v56, v8, v185
	v_pk_fma_f16 v177, v57, v173, v186
	v_pk_fma_f16 v178, v57, v7, v187
	v_pk_fma_f16 v179, v57, v174, v188
	v_pk_fma_f16 v57, v57, v8, v189
	v_pk_fma_f16 v180, v58, v173, v190
	v_pk_fma_f16 v80, v58, v7, v80
	v_pk_fma_f16 v181, v58, v174, v191
	v_pk_fma_f16 v58, v58, v8, v192
	v_pk_fma_f16 v182, v59, v173, v193
	v_pk_fma_f16 v183, v59, v7, v194
	v_pk_fma_f16 v184, v59, v174, v195
	v_pk_fma_f16 v59, v59, v8, v196
	v_pk_fma_f16 v185, v68, v173, v197
	v_pk_fma_f16 v186, v68, v7, v198
	v_pk_fma_f16 v187, v68, v174, v199
	v_pk_fma_f16 v64, v68, v8, v64
	v_pk_fma_f16 v68, v69, v173, v200
	v_pk_fma_f16 v188, v69, v7, v201
	v_pk_fma_f16 v189, v69, v174, v202
	v_pk_fma_f16 v65, v69, v8, v65
	v_pk_fma_f16 v5, v70, v173, v5
	v_pk_fma_f16 v6, v70, v7, v6
	v_pk_fma_f16 v60, v70, v174, v60
	v_pk_fma_f16 v61, v70, v8, v61
	v_pk_fma_f16 v66, v71, v173, v66
	v_pk_fma_f16 v7, v71, v7, v171
	v_pk_fma_f16 v69, v71, v174, v172
	v_mul_u32_u24_sdwa v70, v99, v48 dst_sel:DWORD dst_unused:UNUSED_PAD src0_sel:WORD_0 src1_sel:DWORD
	v_mul_u32_u24_sdwa v99, v99, v48 dst_sel:DWORD dst_unused:UNUSED_PAD src0_sel:WORD_1 src1_sel:DWORD
	v_mul_u32_u24_sdwa v171, v100, v48 dst_sel:DWORD dst_unused:UNUSED_PAD src0_sel:WORD_0 src1_sel:DWORD
	v_mul_u32_u24_sdwa v100, v100, v48 dst_sel:DWORD dst_unused:UNUSED_PAD src0_sel:WORD_1 src1_sel:DWORD
	v_pk_fma_f16 v8, v71, v8, v67
	v_pk_fma_f16 v67, v72, v70, v175
	v_pk_fma_f16 v62, v72, v99, v62
	v_pk_fma_f16 v71, v72, v171, v176
	v_pk_fma_f16 v56, v72, v100, v56
	v_pk_fma_f16 v72, v73, v70, v177
	v_pk_fma_f16 v172, v73, v99, v178
	v_pk_fma_f16 v173, v73, v171, v179
	v_pk_fma_f16 v57, v73, v100, v57
	v_pk_fma_f16 v73, v74, v70, v180
	v_pk_fma_f16 v80, v74, v99, v80
	v_pk_fma_f16 v174, v74, v171, v181
	v_pk_fma_f16 v58, v74, v100, v58
	v_pk_fma_f16 v74, v75, v70, v182
	v_pk_fma_f16 v175, v75, v99, v183
	v_pk_fma_f16 v176, v75, v171, v184
	v_pk_fma_f16 v59, v75, v100, v59
	v_pk_fma_f16 v75, v76, v70, v185
	v_pk_fma_f16 v177, v76, v99, v186
	v_pk_fma_f16 v178, v76, v171, v187
	v_pk_fma_f16 v64, v76, v100, v64
	v_pk_fma_f16 v68, v77, v70, v68
	v_pk_fma_f16 v76, v77, v99, v188
	v_pk_fma_f16 v179, v77, v171, v189
	v_pk_fma_f16 v65, v77, v100, v65
	;; [unrolled: 36-line block ×3, first 2 shown]
	v_pk_fma_f16 v5, v88, v70, v5
	v_pk_fma_f16 v6, v88, v77, v6
	;; [unrolled: 1-line block ×6, first 2 shown]
	v_mul_u32_u24_sdwa v70, v103, v48 dst_sel:DWORD dst_unused:UNUSED_PAD src0_sel:WORD_0 src1_sel:DWORD
	v_mul_u32_u24_sdwa v77, v103, v48 dst_sel:DWORD dst_unused:UNUSED_PAD src0_sel:WORD_1 src1_sel:DWORD
	v_mul_u32_u24_sdwa v78, v104, v48 dst_sel:DWORD dst_unused:UNUSED_PAD src0_sel:WORD_0 src1_sel:DWORD
	v_mul_u32_u24_sdwa v87, v104, v48 dst_sel:DWORD dst_unused:UNUSED_PAD src0_sel:WORD_1 src1_sel:DWORD
	v_pk_fma_f16 v61, v88, v99, v61
	v_pk_fma_f16 v8, v89, v99, v8
	;; [unrolled: 1-line block ×16, first 2 shown]
	v_mul_u32_u24_sdwa v78, v106, v48 dst_sel:DWORD dst_unused:UNUSED_PAD src0_sel:WORD_0 src1_sel:DWORD
	v_mul_u32_u24_sdwa v91, v106, v48 dst_sel:DWORD dst_unused:UNUSED_PAD src0_sel:WORD_1 src1_sel:DWORD
	v_pk_fma_f16 v72, v92, v70, v72
	v_pk_fma_f16 v79, v92, v77, v79
	;; [unrolled: 1-line block ×17, first 2 shown]
	v_mul_u32_u24_sdwa v70, v105, v48 dst_sel:DWORD dst_unused:UNUSED_PAD src0_sel:WORD_0 src1_sel:DWORD
	v_mul_u32_u24_sdwa v77, v105, v48 dst_sel:DWORD dst_unused:UNUSED_PAD src0_sel:WORD_1 src1_sel:DWORD
	v_pk_fma_f16 v8, v98, v87, v8
	v_pk_fma_f16 v56, v107, v91, v56
	;; [unrolled: 1-line block ×7, first 2 shown]
	v_mul_u32_u24_sdwa v89, v140, v48 dst_sel:DWORD dst_unused:UNUSED_PAD src0_sel:WORD_1 src1_sel:DWORD
	v_pk_fma_f16 v67, v107, v70, v67
	v_pk_fma_f16 v62, v107, v77, v62
	;; [unrolled: 1-line block ×19, first 2 shown]
	v_mul_u32_u24_sdwa v70, v139, v48 dst_sel:DWORD dst_unused:UNUSED_PAD src0_sel:WORD_0 src1_sel:DWORD
	v_mul_u32_u24_sdwa v77, v139, v48 dst_sel:DWORD dst_unused:UNUSED_PAD src0_sel:WORD_1 src1_sel:DWORD
	v_pk_fma_f16 v8, v114, v91, v8
	v_pk_fma_f16 v56, v115, v89, v56
	;; [unrolled: 1-line block ×5, first 2 shown]
	v_mul_u32_u24_sdwa v91, v142, v48 dst_sel:DWORD dst_unused:UNUSED_PAD src0_sel:WORD_1 src1_sel:DWORD
	v_pk_fma_f16 v67, v115, v70, v67
	v_pk_fma_f16 v62, v115, v77, v62
	;; [unrolled: 1-line block ×19, first 2 shown]
	v_mul_u32_u24_sdwa v70, v141, v48 dst_sel:DWORD dst_unused:UNUSED_PAD src0_sel:WORD_0 src1_sel:DWORD
	v_mul_u32_u24_sdwa v77, v141, v48 dst_sel:DWORD dst_unused:UNUSED_PAD src0_sel:WORD_1 src1_sel:DWORD
	v_pk_fma_f16 v8, v122, v89, v8
	v_pk_fma_f16 v56, v123, v91, v56
	;; [unrolled: 1-line block ×5, first 2 shown]
	v_mul_u32_u24_sdwa v89, v144, v48 dst_sel:DWORD dst_unused:UNUSED_PAD src0_sel:WORD_1 src1_sel:DWORD
	v_pk_fma_f16 v67, v123, v70, v67
	v_pk_fma_f16 v62, v123, v77, v62
	;; [unrolled: 1-line block ×17, first 2 shown]
	v_mul_u32_u24_sdwa v70, v143, v48 dst_sel:DWORD dst_unused:UNUSED_PAD src0_sel:WORD_0 src1_sel:DWORD
	v_mul_u32_u24_sdwa v77, v143, v48 dst_sel:DWORD dst_unused:UNUSED_PAD src0_sel:WORD_1 src1_sel:DWORD
	v_pk_fma_f16 v56, v131, v89, v56
	v_pk_fma_f16 v57, v132, v89, v57
	;; [unrolled: 1-line block ×4, first 2 shown]
	v_mul_u32_u24_sdwa v93, v146, v48 dst_sel:DWORD dst_unused:UNUSED_PAD src0_sel:WORD_1 src1_sel:DWORD
	v_pk_fma_f16 v71, v107, v78, v71
	v_pk_fma_f16 v82, v108, v78, v82
	;; [unrolled: 1-line block ×6, first 2 shown]
	v_mul_u32_u24_sdwa v78, v140, v48 dst_sel:DWORD dst_unused:UNUSED_PAD src0_sel:WORD_0 src1_sel:DWORD
	v_pk_fma_f16 v65, v128, v91, v65
	v_pk_fma_f16 v61, v129, v91, v61
	v_pk_fma_f16 v8, v130, v91, v8
	v_pk_fma_f16 v67, v131, v70, v67
	v_pk_fma_f16 v62, v131, v77, v62
	v_pk_fma_f16 v79, v132, v77, v79
	v_pk_fma_f16 v80, v133, v77, v80
	v_pk_fma_f16 v84, v134, v77, v84
	v_pk_fma_f16 v85, v135, v77, v85
	v_pk_fma_f16 v64, v135, v89, v64
	v_pk_fma_f16 v76, v136, v77, v76
	v_pk_fma_f16 v6, v137, v77, v6
	v_pk_fma_f16 v7, v138, v77, v7
	v_mul_u32_u24_sdwa v77, v145, v48 dst_sel:DWORD dst_unused:UNUSED_PAD src0_sel:WORD_0 src1_sel:DWORD
	v_pk_fma_f16 v95, v147, v93, v56
	v_pk_fma_f16 v98, v148, v93, v57
	;; [unrolled: 1-line block ×4, first 2 shown]
	s_waitcnt vmcnt(3)
	ds_write_b128 v43, v[155:158]
	s_waitcnt vmcnt(2)
	ds_write_b128 v44, v[159:162]
	;; [unrolled: 2-line block ×4, first 2 shown]
	s_waitcnt lgkmcnt(0)
	s_barrier
	buffer_gl0_inv
	ds_read_b128 v[56:59], v42 offset:768
	v_pk_fma_f16 v71, v115, v78, v71
	v_pk_fma_f16 v82, v116, v78, v82
	;; [unrolled: 1-line block ×8, first 2 shown]
	v_mul_u32_u24_sdwa v78, v142, v48 dst_sel:DWORD dst_unused:UNUSED_PAD src0_sel:WORD_0 src1_sel:DWORD
	v_pk_fma_f16 v72, v132, v70, v72
	v_pk_fma_f16 v73, v133, v70, v73
	;; [unrolled: 1-line block ×12, first 2 shown]
	ds_read2_b64 v[64:67], v63 offset1:32
	v_pk_fma_f16 v71, v123, v78, v71
	v_pk_fma_f16 v82, v124, v78, v82
	;; [unrolled: 1-line block ×8, first 2 shown]
	v_mul_u32_u24_sdwa v78, v144, v48 dst_sel:DWORD dst_unused:UNUSED_PAD src0_sel:WORD_0 src1_sel:DWORD
	v_mul_u32_u24_sdwa v92, v146, v48 dst_sel:DWORD dst_unused:UNUSED_PAD src0_sel:WORD_0 src1_sel:DWORD
	v_pk_fma_f16 v96, v148, v77, v72
	v_pk_fma_f16 v99, v149, v77, v73
	;; [unrolled: 1-line block ×11, first 2 shown]
	v_mul_u32_u24_sdwa v78, v145, v48 dst_sel:DWORD dst_unused:UNUSED_PAD src0_sel:WORD_1 src1_sel:DWORD
	v_pk_fma_f16 v94, v147, v92, v71
	v_pk_fma_f16 v82, v148, v92, v82
	;; [unrolled: 1-line block ×8, first 2 shown]
	s_waitcnt lgkmcnt(1)
	v_mul_u32_u24_sdwa v111, v56, v48 dst_sel:DWORD dst_unused:UNUSED_PAD src0_sel:WORD_0 src1_sel:DWORD
	v_mul_u32_u24_sdwa v56, v56, v48 dst_sel:DWORD dst_unused:UNUSED_PAD src0_sel:WORD_1 src1_sel:DWORD
	v_mul_u32_u24_sdwa v112, v57, v48 dst_sel:DWORD dst_unused:UNUSED_PAD src0_sel:WORD_0 src1_sel:DWORD
	v_mul_u32_u24_sdwa v57, v57, v48 dst_sel:DWORD dst_unused:UNUSED_PAD src0_sel:WORD_1 src1_sel:DWORD
	v_pk_fma_f16 v103, v151, v77, v75
	v_pk_fma_f16 v88, v151, v92, v88
	;; [unrolled: 1-line block ×7, first 2 shown]
	ds_read2_b64 v[68:71], v63 offset0:64 offset1:96
	ds_read_b128 v[72:75], v42 offset:784
	v_pk_fma_f16 v85, v151, v78, v85
	v_pk_fma_f16 v106, v152, v78, v76
	;; [unrolled: 1-line block ×8, first 2 shown]
	ds_read_b128 v[76:79], v42 offset:800
	ds_read_b128 v[5:8], v42 offset:816
	s_waitcnt lgkmcnt(4)
	v_pk_fma_f16 v89, v64, v111, v89
	v_pk_fma_f16 v62, v64, v56, v62
	;; [unrolled: 1-line block ×16, first 2 shown]
	ds_read2_b64 v[64:67], v63 offset0:128 offset1:160
	s_waitcnt lgkmcnt(4)
	v_pk_fma_f16 v103, v68, v111, v103
	v_pk_fma_f16 v116, v68, v56, v85
	;; [unrolled: 1-line block ×14, first 2 shown]
	ds_read2_b64 v[82:85], v63 offset0:192 offset1:224
	v_mul_u32_u24_sdwa v108, v58, v48 dst_sel:DWORD dst_unused:UNUSED_PAD src0_sel:WORD_0 src1_sel:DWORD
	v_mul_u32_u24_sdwa v109, v58, v48 dst_sel:DWORD dst_unused:UNUSED_PAD src0_sel:WORD_1 src1_sel:DWORD
	v_mul_u32_u24_sdwa v110, v59, v48 dst_sel:DWORD dst_unused:UNUSED_PAD src0_sel:WORD_0 src1_sel:DWORD
	v_mul_u32_u24_sdwa v111, v59, v48 dst_sel:DWORD dst_unused:UNUSED_PAD src0_sel:WORD_1 src1_sel:DWORD
	v_pk_fma_f16 v92, v71, v112, v92
	v_pk_fma_f16 v71, v71, v57, v93
	s_waitcnt lgkmcnt(1)
	v_pk_fma_f16 v89, v64, v108, v89
	v_pk_fma_f16 v62, v64, v109, v62
	;; [unrolled: 1-line block ×16, first 2 shown]
	ds_read2_b64 v[56:59], v53 offset1:32
	ds_read2_b64 v[64:67], v53 offset0:64 offset1:96
	s_waitcnt lgkmcnt(2)
	v_pk_fma_f16 v103, v82, v108, v103
	v_pk_fma_f16 v114, v82, v109, v116
	;; [unrolled: 1-line block ×13, first 2 shown]
	v_mul_u32_u24_sdwa v105, v72, v48 dst_sel:DWORD dst_unused:UNUSED_PAD src0_sel:WORD_0 src1_sel:DWORD
	v_mul_u32_u24_sdwa v72, v72, v48 dst_sel:DWORD dst_unused:UNUSED_PAD src0_sel:WORD_1 src1_sel:DWORD
	v_mul_u32_u24_sdwa v106, v73, v48 dst_sel:DWORD dst_unused:UNUSED_PAD src0_sel:WORD_0 src1_sel:DWORD
	v_mul_u32_u24_sdwa v73, v73, v48 dst_sel:DWORD dst_unused:UNUSED_PAD src0_sel:WORD_1 src1_sel:DWORD
	v_pk_fma_f16 v84, v85, v109, v107
	v_pk_fma_f16 v92, v85, v110, v92
	;; [unrolled: 1-line block ×3, first 2 shown]
	s_waitcnt lgkmcnt(1)
	v_pk_fma_f16 v89, v56, v105, v89
	v_pk_fma_f16 v62, v56, v72, v62
	;; [unrolled: 1-line block ×16, first 2 shown]
	s_waitcnt lgkmcnt(0)
	v_pk_fma_f16 v103, v64, v105, v103
	v_pk_fma_f16 v109, v64, v72, v114
	ds_read2_b64 v[56:59], v53 offset0:128 offset1:160
	v_pk_fma_f16 v88, v64, v106, v88
	v_pk_fma_f16 v64, v64, v73, v68
	;; [unrolled: 1-line block ×11, first 2 shown]
	ds_read2_b64 v[68:71], v53 offset0:192 offset1:224
	v_pk_fma_f16 v72, v67, v72, v84
	v_pk_fma_f16 v84, v67, v106, v92
	v_mul_u32_u24_sdwa v92, v74, v48 dst_sel:DWORD dst_unused:UNUSED_PAD src0_sel:WORD_0 src1_sel:DWORD
	v_mul_u32_u24_sdwa v74, v74, v48 dst_sel:DWORD dst_unused:UNUSED_PAD src0_sel:WORD_1 src1_sel:DWORD
	v_mul_u32_u24_sdwa v105, v75, v48 dst_sel:DWORD dst_unused:UNUSED_PAD src0_sel:WORD_0 src1_sel:DWORD
	v_mul_u32_u24_sdwa v75, v75, v48 dst_sel:DWORD dst_unused:UNUSED_PAD src0_sel:WORD_1 src1_sel:DWORD
	v_pk_fma_f16 v73, v67, v73, v85
	s_waitcnt lgkmcnt(1)
	v_pk_fma_f16 v85, v56, v92, v89
	v_pk_fma_f16 v62, v56, v74, v62
	;; [unrolled: 1-line block ×16, first 2 shown]
	s_waitcnt lgkmcnt(0)
	v_pk_fma_f16 v103, v68, v92, v103
	v_pk_fma_f16 v107, v68, v74, v109
	ds_read2_b64 v[56:59], v54 offset1:32
	v_pk_fma_f16 v88, v68, v105, v88
	v_pk_fma_f16 v68, v68, v75, v64
	;; [unrolled: 1-line block ×11, first 2 shown]
	ds_read2_b64 v[64:67], v54 offset0:64 offset1:96
	v_pk_fma_f16 v72, v71, v74, v72
	v_pk_fma_f16 v74, v71, v105, v84
	v_mul_u32_u24_sdwa v84, v76, v48 dst_sel:DWORD dst_unused:UNUSED_PAD src0_sel:WORD_0 src1_sel:DWORD
	v_mul_u32_u24_sdwa v76, v76, v48 dst_sel:DWORD dst_unused:UNUSED_PAD src0_sel:WORD_1 src1_sel:DWORD
	v_mul_u32_u24_sdwa v92, v77, v48 dst_sel:DWORD dst_unused:UNUSED_PAD src0_sel:WORD_0 src1_sel:DWORD
	v_mul_u32_u24_sdwa v77, v77, v48 dst_sel:DWORD dst_unused:UNUSED_PAD src0_sel:WORD_1 src1_sel:DWORD
	v_pk_fma_f16 v73, v71, v75, v73
	s_waitcnt lgkmcnt(1)
	v_pk_fma_f16 v75, v56, v84, v85
	v_pk_fma_f16 v62, v56, v76, v62
	;; [unrolled: 1-line block ×16, first 2 shown]
	s_waitcnt lgkmcnt(0)
	v_pk_fma_f16 v103, v64, v84, v103
	v_pk_fma_f16 v105, v64, v76, v107
	ds_read2_b64 v[56:59], v54 offset0:128 offset1:160
	v_pk_fma_f16 v88, v64, v92, v88
	v_pk_fma_f16 v64, v64, v77, v68
	;; [unrolled: 1-line block ×11, first 2 shown]
	ds_read2_b64 v[68:71], v54 offset0:192 offset1:224
	v_pk_fma_f16 v72, v67, v76, v72
	v_mul_u32_u24_sdwa v76, v78, v48 dst_sel:DWORD dst_unused:UNUSED_PAD src0_sel:WORD_0 src1_sel:DWORD
	v_mul_u32_u24_sdwa v78, v78, v48 dst_sel:DWORD dst_unused:UNUSED_PAD src0_sel:WORD_1 src1_sel:DWORD
	v_mul_u32_u24_sdwa v84, v79, v48 dst_sel:DWORD dst_unused:UNUSED_PAD src0_sel:WORD_0 src1_sel:DWORD
	v_mul_u32_u24_sdwa v79, v79, v48 dst_sel:DWORD dst_unused:UNUSED_PAD src0_sel:WORD_1 src1_sel:DWORD
	v_pk_fma_f16 v74, v67, v92, v74
	v_pk_fma_f16 v73, v67, v77, v73
	s_waitcnt lgkmcnt(1)
	v_pk_fma_f16 v75, v56, v76, v75
	v_pk_fma_f16 v62, v56, v78, v62
	;; [unrolled: 1-line block ×16, first 2 shown]
	s_waitcnt lgkmcnt(0)
	v_pk_fma_f16 v101, v68, v76, v103
	v_pk_fma_f16 v102, v68, v78, v105
	ds_read2_b64 v[56:59], v55 offset1:32
	v_pk_fma_f16 v88, v68, v84, v88
	v_pk_fma_f16 v68, v68, v79, v64
	;; [unrolled: 1-line block ×7, first 2 shown]
	ds_read2_b64 v[64:67], v55 offset0:64 offset1:96
	s_or_b32 s0, s8, 0x70
	v_mul_u32_u24_sdwa v178, v5, v48 dst_sel:DWORD dst_unused:UNUSED_PAD src0_sel:WORD_0 src1_sel:DWORD
	s_mul_hi_i32 s25, s0, s9
	s_mul_i32 s24, s0, s9
	v_mul_u32_u24_sdwa v179, v5, v48 dst_sel:DWORD dst_unused:UNUSED_PAD src0_sel:WORD_1 src1_sel:DWORD
	s_lshl_b64 s[24:25], s[24:25], 2
	v_pk_fma_f16 v173, v70, v84, v60
	s_add_u32 s0, s12, s24
	s_addc_u32 s19, s13, s25
	v_add_co_u32 v5, vcc_lo, s0, v27
	v_mul_u32_u24_sdwa v180, v6, v48 dst_sel:DWORD dst_unused:UNUSED_PAD src0_sel:WORD_0 src1_sel:DWORD
	v_mul_u32_u24_sdwa v181, v6, v48 dst_sel:DWORD dst_unused:UNUSED_PAD src0_sel:WORD_1 src1_sel:DWORD
	v_add_co_ci_u32_e64 v6, null, s19, v28, vcc_lo
	v_add_co_u32 v60, vcc_lo, s0, v29
	v_pk_fma_f16 v174, v70, v79, v61
	v_add_co_ci_u32_e64 v61, null, s19, v30, vcc_lo
	v_add_co_u32 v5, vcc_lo, v5, v90
	v_add_co_ci_u32_e64 v6, null, 0, v6, vcc_lo
	v_add_co_u32 v60, vcc_lo, v60, v90
	v_add_co_ci_u32_e64 v61, null, 0, v61, vcc_lo
	v_pk_fma_f16 v171, v70, v76, v83
	v_pk_fma_f16 v172, v70, v78, v91
	;; [unrolled: 1-line block ×5, first 2 shown]
	s_waitcnt lgkmcnt(1)
	v_pk_fma_f16 v183, v56, v178, v75
	v_pk_fma_f16 v62, v56, v179, v62
	;; [unrolled: 1-line block ×16, first 2 shown]
	s_waitcnt lgkmcnt(0)
	v_pk_fma_f16 v197, v64, v178, v101
	v_pk_fma_f16 v198, v64, v179, v102
	;; [unrolled: 1-line block ×8, first 2 shown]
	ds_read2_b64 v[56:59], v55 offset0:128 offset1:160
	ds_read2_b64 v[68:71], v55 offset0:192 offset1:224
	ds_read2_b64 v[72:75], v52 offset1:32
	ds_read2_b64 v[76:79], v52 offset0:64 offset1:96
	ds_read2_b64 v[82:85], v52 offset0:128 offset1:160
	;; [unrolled: 1-line block ×3, first 2 shown]
	ds_read2_b64 v[91:94], v51 offset1:32
	ds_read2_b64 v[95:98], v51 offset0:64 offset1:96
	ds_read_b128 v[99:102], v42 offset:832
	ds_read_b128 v[103:106], v42 offset:848
	ds_read2_b64 v[107:110], v51 offset0:128 offset1:160
	ds_read2_b64 v[111:114], v51 offset0:192 offset1:224
	ds_read2_b64 v[115:118], v50 offset1:32
	ds_read2_b64 v[119:122], v50 offset0:64 offset1:96
	ds_read2_b64 v[123:126], v50 offset0:128 offset1:160
	ds_read2_b64 v[127:130], v50 offset0:192 offset1:224
	ds_read2_b64 v[131:134], v49 offset1:32
	ds_read2_b64 v[135:138], v49 offset0:64 offset1:96
	ds_read_b128 v[139:142], v42 offset:864
	ds_read_b128 v[143:146], v42 offset:880
	ds_read2_b64 v[147:150], v49 offset0:128 offset1:160
	ds_read2_b64 v[151:154], v49 offset0:192 offset1:224
	s_waitcnt lgkmcnt(0)
	s_barrier
	buffer_gl0_inv
	s_clause 0x3
	global_load_dwordx4 v[155:158], v[5:6], off
	global_load_dwordx4 v[159:162], v[5:6], off offset:512
	global_load_dwordx4 v[163:166], v[60:61], off
	global_load_dwordx4 v[167:170], v[60:61], off offset:512
	v_pk_fma_f16 v5, v66, v178, v171
	v_pk_fma_f16 v6, v66, v179, v172
	v_pk_fma_f16 v60, v66, v180, v173
	v_pk_fma_f16 v61, v66, v181, v174
	v_pk_fma_f16 v66, v67, v178, v175
	v_pk_fma_f16 v90, v67, v179, v176
	v_pk_fma_f16 v171, v67, v180, v177
	v_mul_u32_u24_sdwa v172, v7, v48 dst_sel:DWORD dst_unused:UNUSED_PAD src0_sel:WORD_0 src1_sel:DWORD
	v_mul_u32_u24_sdwa v7, v7, v48 dst_sel:DWORD dst_unused:UNUSED_PAD src0_sel:WORD_1 src1_sel:DWORD
	v_mul_u32_u24_sdwa v173, v8, v48 dst_sel:DWORD dst_unused:UNUSED_PAD src0_sel:WORD_0 src1_sel:DWORD
	v_mul_u32_u24_sdwa v8, v8, v48 dst_sel:DWORD dst_unused:UNUSED_PAD src0_sel:WORD_1 src1_sel:DWORD
	v_pk_fma_f16 v67, v67, v181, v182
	v_pk_fma_f16 v174, v56, v172, v183
	v_pk_fma_f16 v62, v56, v7, v62
	v_pk_fma_f16 v175, v56, v173, v184
	v_pk_fma_f16 v56, v56, v8, v185
	v_pk_fma_f16 v176, v57, v172, v186
	v_pk_fma_f16 v177, v57, v7, v187
	v_pk_fma_f16 v178, v57, v173, v188
	v_pk_fma_f16 v57, v57, v8, v189
	v_pk_fma_f16 v179, v58, v172, v190
	v_pk_fma_f16 v80, v58, v7, v80
	v_pk_fma_f16 v180, v58, v173, v191
	v_pk_fma_f16 v58, v58, v8, v192
	v_pk_fma_f16 v181, v59, v172, v193
	v_pk_fma_f16 v182, v59, v7, v194
	v_pk_fma_f16 v183, v59, v173, v195
	v_pk_fma_f16 v59, v59, v8, v196
	v_pk_fma_f16 v184, v68, v172, v197
	v_pk_fma_f16 v185, v68, v7, v198
	v_pk_fma_f16 v186, v68, v173, v199
	v_pk_fma_f16 v64, v68, v8, v64
	v_pk_fma_f16 v68, v69, v172, v200
	v_pk_fma_f16 v187, v69, v7, v201
	v_pk_fma_f16 v188, v69, v173, v202
	v_pk_fma_f16 v65, v69, v8, v65
	v_pk_fma_f16 v5, v70, v172, v5
	v_pk_fma_f16 v6, v70, v7, v6
	v_pk_fma_f16 v60, v70, v173, v60
	v_pk_fma_f16 v61, v70, v8, v61
	v_pk_fma_f16 v66, v71, v172, v66
	v_pk_fma_f16 v7, v71, v7, v90
	v_pk_fma_f16 v69, v71, v173, v171
	v_mul_u32_u24_sdwa v70, v99, v48 dst_sel:DWORD dst_unused:UNUSED_PAD src0_sel:WORD_0 src1_sel:DWORD
	v_mul_u32_u24_sdwa v90, v99, v48 dst_sel:DWORD dst_unused:UNUSED_PAD src0_sel:WORD_1 src1_sel:DWORD
	v_mul_u32_u24_sdwa v99, v100, v48 dst_sel:DWORD dst_unused:UNUSED_PAD src0_sel:WORD_0 src1_sel:DWORD
	v_mul_u32_u24_sdwa v100, v100, v48 dst_sel:DWORD dst_unused:UNUSED_PAD src0_sel:WORD_1 src1_sel:DWORD
	v_pk_fma_f16 v8, v71, v8, v67
	v_pk_fma_f16 v67, v72, v70, v174
	v_pk_fma_f16 v62, v72, v90, v62
	v_pk_fma_f16 v71, v72, v99, v175
	v_pk_fma_f16 v56, v72, v100, v56
	v_pk_fma_f16 v72, v73, v70, v176
	v_pk_fma_f16 v171, v73, v90, v177
	v_pk_fma_f16 v172, v73, v99, v178
	v_pk_fma_f16 v57, v73, v100, v57
	v_pk_fma_f16 v73, v74, v70, v179
	v_pk_fma_f16 v80, v74, v90, v80
	v_pk_fma_f16 v173, v74, v99, v180
	v_pk_fma_f16 v58, v74, v100, v58
	v_pk_fma_f16 v74, v75, v70, v181
	v_pk_fma_f16 v174, v75, v90, v182
	v_pk_fma_f16 v175, v75, v99, v183
	v_pk_fma_f16 v59, v75, v100, v59
	v_pk_fma_f16 v75, v76, v70, v184
	v_pk_fma_f16 v176, v76, v90, v185
	v_pk_fma_f16 v177, v76, v99, v186
	v_pk_fma_f16 v64, v76, v100, v64
	v_pk_fma_f16 v68, v77, v70, v68
	v_pk_fma_f16 v76, v77, v90, v187
	v_pk_fma_f16 v178, v77, v99, v188
	v_pk_fma_f16 v65, v77, v100, v65
	;; [unrolled: 36-line block ×5, first 2 shown]
	v_pk_fma_f16 v7, v114, v77, v7
	v_mul_u32_u24_sdwa v70, v139, v48 dst_sel:DWORD dst_unused:UNUSED_PAD src0_sel:WORD_0 src1_sel:DWORD
	v_mul_u32_u24_sdwa v77, v139, v48 dst_sel:DWORD dst_unused:UNUSED_PAD src0_sel:WORD_1 src1_sel:DWORD
	v_mul_u32_u24_sdwa v89, v140, v48 dst_sel:DWORD dst_unused:UNUSED_PAD src0_sel:WORD_1 src1_sel:DWORD
	v_pk_fma_f16 v8, v114, v90, v8
	v_mul_u32_u24_sdwa v90, v142, v48 dst_sel:DWORD dst_unused:UNUSED_PAD src0_sel:WORD_1 src1_sel:DWORD
	v_pk_fma_f16 v67, v115, v70, v67
	v_pk_fma_f16 v62, v115, v77, v62
	v_pk_fma_f16 v56, v115, v89, v56
	v_pk_fma_f16 v72, v116, v70, v72
	v_pk_fma_f16 v79, v116, v77, v79
	v_pk_fma_f16 v57, v116, v89, v57
	v_pk_fma_f16 v73, v117, v70, v73
	v_pk_fma_f16 v80, v117, v77, v80
	v_pk_fma_f16 v58, v117, v89, v58
	v_pk_fma_f16 v74, v118, v70, v74
	v_pk_fma_f16 v84, v118, v77, v84
	v_pk_fma_f16 v59, v118, v89, v59
	v_pk_fma_f16 v75, v119, v70, v75
	v_pk_fma_f16 v85, v119, v77, v85
	v_pk_fma_f16 v64, v119, v89, v64
	v_pk_fma_f16 v68, v120, v70, v68
	v_pk_fma_f16 v76, v120, v77, v76
	v_pk_fma_f16 v65, v120, v89, v65
	v_pk_fma_f16 v5, v121, v70, v5
	v_pk_fma_f16 v6, v121, v77, v6
	v_pk_fma_f16 v61, v121, v89, v61
	v_pk_fma_f16 v66, v122, v70, v66
	v_pk_fma_f16 v7, v122, v77, v7
	v_mul_u32_u24_sdwa v70, v141, v48 dst_sel:DWORD dst_unused:UNUSED_PAD src0_sel:WORD_0 src1_sel:DWORD
	v_mul_u32_u24_sdwa v77, v141, v48 dst_sel:DWORD dst_unused:UNUSED_PAD src0_sel:WORD_1 src1_sel:DWORD
	v_pk_fma_f16 v8, v122, v89, v8
	v_pk_fma_f16 v56, v123, v90, v56
	;; [unrolled: 1-line block ×24, first 2 shown]
	v_mul_u32_u24_sdwa v70, v143, v48 dst_sel:DWORD dst_unused:UNUSED_PAD src0_sel:WORD_0 src1_sel:DWORD
	v_mul_u32_u24_sdwa v77, v143, v48 dst_sel:DWORD dst_unused:UNUSED_PAD src0_sel:WORD_1 src1_sel:DWORD
	v_mul_u32_u24_sdwa v89, v144, v48 dst_sel:DWORD dst_unused:UNUSED_PAD src0_sel:WORD_1 src1_sel:DWORD
	v_pk_fma_f16 v8, v130, v90, v8
	v_pk_fma_f16 v71, v107, v78, v71
	;; [unrolled: 1-line block ×7, first 2 shown]
	v_mul_u32_u24_sdwa v78, v140, v48 dst_sel:DWORD dst_unused:UNUSED_PAD src0_sel:WORD_0 src1_sel:DWORD
	v_pk_fma_f16 v67, v131, v70, v67
	v_pk_fma_f16 v56, v131, v89, v56
	;; [unrolled: 1-line block ×17, first 2 shown]
	v_mul_u32_u24_sdwa v93, v146, v48 dst_sel:DWORD dst_unused:UNUSED_PAD src0_sel:WORD_1 src1_sel:DWORD
	v_pk_fma_f16 v89, v138, v89, v8
	s_waitcnt vmcnt(3)
	ds_write_b128 v43, v[155:158]
	s_waitcnt vmcnt(2)
	ds_write_b128 v44, v[159:162]
	;; [unrolled: 2-line block ×4, first 2 shown]
	s_waitcnt lgkmcnt(0)
	s_barrier
	buffer_gl0_inv
	ds_read_b128 v[5:8], v42 offset:896
	v_pk_fma_f16 v71, v115, v78, v71
	v_pk_fma_f16 v82, v116, v78, v82
	;; [unrolled: 1-line block ×8, first 2 shown]
	v_mul_u32_u24_sdwa v78, v142, v48 dst_sel:DWORD dst_unused:UNUSED_PAD src0_sel:WORD_0 src1_sel:DWORD
	v_pk_fma_f16 v96, v147, v93, v56
	v_pk_fma_f16 v99, v148, v93, v57
	;; [unrolled: 1-line block ×4, first 2 shown]
	ds_read2_b64 v[56:59], v63 offset1:32
	v_pk_fma_f16 v71, v123, v78, v71
	v_pk_fma_f16 v82, v124, v78, v82
	;; [unrolled: 1-line block ×8, first 2 shown]
	v_mul_u32_u24_sdwa v78, v144, v48 dst_sel:DWORD dst_unused:UNUSED_PAD src0_sel:WORD_0 src1_sel:DWORD
	v_pk_fma_f16 v62, v131, v77, v62
	v_pk_fma_f16 v79, v132, v77, v79
	v_pk_fma_f16 v80, v133, v77, v80
	v_pk_fma_f16 v84, v134, v77, v84
	v_pk_fma_f16 v71, v131, v78, v71
	v_pk_fma_f16 v82, v132, v78, v82
	v_pk_fma_f16 v83, v133, v78, v83
	v_pk_fma_f16 v87, v134, v78, v87
	v_pk_fma_f16 v85, v135, v77, v85
	v_pk_fma_f16 v88, v135, v78, v88
	v_pk_fma_f16 v76, v136, v77, v76
	v_pk_fma_f16 v86, v136, v78, v86
	v_pk_fma_f16 v60, v137, v78, v60
	v_pk_fma_f16 v69, v138, v78, v69
	v_mul_u32_u24_sdwa v77, v145, v48 dst_sel:DWORD dst_unused:UNUSED_PAD src0_sel:WORD_0 src1_sel:DWORD
	v_mul_u32_u24_sdwa v78, v145, v48 dst_sel:DWORD dst_unused:UNUSED_PAD src0_sel:WORD_1 src1_sel:DWORD
	v_mul_u32_u24_sdwa v92, v146, v48 dst_sel:DWORD dst_unused:UNUSED_PAD src0_sel:WORD_0 src1_sel:DWORD
	v_pk_fma_f16 v105, v151, v93, v64
	v_pk_fma_f16 v108, v152, v93, v65
	;; [unrolled: 1-line block ×14, first 2 shown]
	ds_read2_b64 v[64:67], v63 offset0:64 offset1:96
	ds_read_b128 v[68:71], v42 offset:912
	v_pk_fma_f16 v62, v147, v78, v62
	v_pk_fma_f16 v97, v148, v77, v72
	;; [unrolled: 1-line block ×9, first 2 shown]
	s_waitcnt lgkmcnt(3)
	v_mul_u32_u24_sdwa v93, v5, v48 dst_sel:DWORD dst_unused:UNUSED_PAD src0_sel:WORD_0 src1_sel:DWORD
	v_mul_u32_u24_sdwa v5, v5, v48 dst_sel:DWORD dst_unused:UNUSED_PAD src0_sel:WORD_1 src1_sel:DWORD
	v_mul_u32_u24_sdwa v111, v6, v48 dst_sel:DWORD dst_unused:UNUSED_PAD src0_sel:WORD_0 src1_sel:DWORD
	v_mul_u32_u24_sdwa v6, v6, v48 dst_sel:DWORD dst_unused:UNUSED_PAD src0_sel:WORD_1 src1_sel:DWORD
	v_pk_fma_f16 v104, v151, v77, v75
	v_pk_fma_f16 v85, v151, v78, v85
	;; [unrolled: 1-line block ×5, first 2 shown]
	ds_read_b128 v[72:75], v42 offset:928
	ds_read_b128 v[76:79], v42 offset:944
	s_waitcnt lgkmcnt(4)
	v_pk_fma_f16 v94, v56, v93, v94
	v_pk_fma_f16 v112, v56, v5, v62
	;; [unrolled: 1-line block ×16, first 2 shown]
	ds_read2_b64 v[56:59], v63 offset0:128 offset1:160
	s_waitcnt lgkmcnt(4)
	v_pk_fma_f16 v104, v64, v93, v104
	v_pk_fma_f16 v85, v64, v5, v85
	;; [unrolled: 1-line block ×10, first 2 shown]
	ds_read2_b64 v[60:63], v63 offset0:192 offset1:224
	v_pk_fma_f16 v86, v65, v111, v86
	v_pk_fma_f16 v65, v65, v6, v108
	;; [unrolled: 1-line block ×5, first 2 shown]
	v_mul_u32_u24_sdwa v109, v7, v48 dst_sel:DWORD dst_unused:UNUSED_PAD src0_sel:WORD_0 src1_sel:DWORD
	v_mul_u32_u24_sdwa v110, v7, v48 dst_sel:DWORD dst_unused:UNUSED_PAD src0_sel:WORD_1 src1_sel:DWORD
	v_mul_u32_u24_sdwa v111, v8, v48 dst_sel:DWORD dst_unused:UNUSED_PAD src0_sel:WORD_0 src1_sel:DWORD
	v_mul_u32_u24_sdwa v113, v8, v48 dst_sel:DWORD dst_unused:UNUSED_PAD src0_sel:WORD_1 src1_sel:DWORD
	v_pk_fma_f16 v67, v67, v6, v89
	ds_read2_b64 v[5:8], v53 offset1:32
	s_waitcnt lgkmcnt(2)
	v_pk_fma_f16 v89, v56, v109, v94
	v_pk_fma_f16 v94, v56, v110, v112
	;; [unrolled: 1-line block ×16, first 2 shown]
	ds_read2_b64 v[56:59], v53 offset0:64 offset1:96
	s_waitcnt lgkmcnt(2)
	v_pk_fma_f16 v104, v60, v109, v104
	v_pk_fma_f16 v85, v60, v110, v85
	;; [unrolled: 1-line block ×11, first 2 shown]
	v_mul_u32_u24_sdwa v106, v68, v48 dst_sel:DWORD dst_unused:UNUSED_PAD src0_sel:WORD_0 src1_sel:DWORD
	v_mul_u32_u24_sdwa v68, v68, v48 dst_sel:DWORD dst_unused:UNUSED_PAD src0_sel:WORD_1 src1_sel:DWORD
	v_mul_u32_u24_sdwa v107, v69, v48 dst_sel:DWORD dst_unused:UNUSED_PAD src0_sel:WORD_0 src1_sel:DWORD
	v_mul_u32_u24_sdwa v69, v69, v48 dst_sel:DWORD dst_unused:UNUSED_PAD src0_sel:WORD_1 src1_sel:DWORD
	v_pk_fma_f16 v62, v62, v113, v66
	s_waitcnt lgkmcnt(1)
	v_pk_fma_f16 v89, v5, v106, v89
	v_pk_fma_f16 v94, v5, v68, v94
	;; [unrolled: 1-line block ×16, first 2 shown]
	ds_read2_b64 v[5:8], v53 offset0:128 offset1:160
	v_pk_fma_f16 v66, v63, v109, v93
	v_pk_fma_f16 v93, v63, v110, v108
	;; [unrolled: 1-line block ×4, first 2 shown]
	s_waitcnt lgkmcnt(1)
	v_pk_fma_f16 v104, v56, v106, v104
	v_pk_fma_f16 v85, v56, v68, v85
	;; [unrolled: 1-line block ×12, first 2 shown]
	ds_read2_b64 v[60:63], v53 offset0:192 offset1:224
	v_pk_fma_f16 v68, v59, v68, v93
	v_mul_u32_u24_sdwa v53, v70, v48 dst_sel:DWORD dst_unused:UNUSED_PAD src0_sel:WORD_0 src1_sel:DWORD
	v_mul_u32_u24_sdwa v70, v70, v48 dst_sel:DWORD dst_unused:UNUSED_PAD src0_sel:WORD_1 src1_sel:DWORD
	v_mul_u32_u24_sdwa v93, v71, v48 dst_sel:DWORD dst_unused:UNUSED_PAD src0_sel:WORD_0 src1_sel:DWORD
	v_mul_u32_u24_sdwa v71, v71, v48 dst_sel:DWORD dst_unused:UNUSED_PAD src0_sel:WORD_1 src1_sel:DWORD
	v_pk_fma_f16 v67, v59, v69, v67
	s_waitcnt lgkmcnt(1)
	v_pk_fma_f16 v69, v5, v53, v89
	v_pk_fma_f16 v89, v5, v70, v94
	;; [unrolled: 1-line block ×16, first 2 shown]
	ds_read2_b64 v[5:8], v54 offset1:32
	v_pk_fma_f16 v66, v59, v106, v66
	v_pk_fma_f16 v92, v59, v107, v92
	s_waitcnt lgkmcnt(1)
	v_pk_fma_f16 v103, v60, v53, v104
	v_pk_fma_f16 v85, v60, v70, v85
	;; [unrolled: 1-line block ×12, first 2 shown]
	ds_read2_b64 v[56:59], v54 offset0:64 offset1:96
	v_pk_fma_f16 v53, v63, v53, v66
	v_pk_fma_f16 v66, v63, v70, v68
	;; [unrolled: 1-line block ×3, first 2 shown]
	v_mul_u32_u24_sdwa v70, v72, v48 dst_sel:DWORD dst_unused:UNUSED_PAD src0_sel:WORD_0 src1_sel:DWORD
	v_mul_u32_u24_sdwa v72, v72, v48 dst_sel:DWORD dst_unused:UNUSED_PAD src0_sel:WORD_1 src1_sel:DWORD
	v_mul_u32_u24_sdwa v92, v73, v48 dst_sel:DWORD dst_unused:UNUSED_PAD src0_sel:WORD_0 src1_sel:DWORD
	v_mul_u32_u24_sdwa v73, v73, v48 dst_sel:DWORD dst_unused:UNUSED_PAD src0_sel:WORD_1 src1_sel:DWORD
	v_pk_fma_f16 v67, v63, v71, v67
	s_waitcnt lgkmcnt(1)
	v_pk_fma_f16 v69, v5, v70, v69
	v_pk_fma_f16 v71, v5, v72, v89
	;; [unrolled: 1-line block ×16, first 2 shown]
	ds_read2_b64 v[5:8], v54 offset0:128 offset1:160
	s_waitcnt lgkmcnt(1)
	v_pk_fma_f16 v101, v56, v70, v103
	v_pk_fma_f16 v85, v56, v72, v85
	;; [unrolled: 1-line block ×12, first 2 shown]
	ds_read2_b64 v[60:63], v54 offset0:192 offset1:224
	v_pk_fma_f16 v53, v59, v70, v53
	v_pk_fma_f16 v66, v59, v72, v66
	v_mul_u32_u24_sdwa v54, v74, v48 dst_sel:DWORD dst_unused:UNUSED_PAD src0_sel:WORD_0 src1_sel:DWORD
	v_mul_u32_u24_sdwa v70, v74, v48 dst_sel:DWORD dst_unused:UNUSED_PAD src0_sel:WORD_1 src1_sel:DWORD
	v_mul_u32_u24_sdwa v72, v75, v48 dst_sel:DWORD dst_unused:UNUSED_PAD src0_sel:WORD_0 src1_sel:DWORD
	v_mul_u32_u24_sdwa v74, v75, v48 dst_sel:DWORD dst_unused:UNUSED_PAD src0_sel:WORD_1 src1_sel:DWORD
	v_pk_fma_f16 v68, v59, v92, v68
	v_pk_fma_f16 v67, v59, v73, v67
	s_waitcnt lgkmcnt(1)
	v_pk_fma_f16 v69, v5, v54, v69
	v_pk_fma_f16 v71, v5, v70, v71
	v_pk_fma_f16 v73, v5, v72, v89
	v_pk_fma_f16 v75, v5, v74, v93
	v_pk_fma_f16 v89, v6, v54, v94
	v_pk_fma_f16 v92, v6, v70, v95
	v_pk_fma_f16 v82, v6, v72, v82
	v_pk_fma_f16 v93, v6, v74, v96
	v_pk_fma_f16 v94, v7, v54, v97
	v_pk_fma_f16 v80, v7, v70, v80
	v_pk_fma_f16 v83, v7, v72, v83
	v_pk_fma_f16 v95, v7, v74, v98
	v_pk_fma_f16 v96, v8, v54, v99
	v_pk_fma_f16 v84, v8, v70, v84
	v_pk_fma_f16 v87, v8, v72, v87
	v_pk_fma_f16 v97, v8, v74, v100
	ds_read2_b64 v[5:8], v55 offset1:32
	s_waitcnt lgkmcnt(1)
	v_pk_fma_f16 v98, v60, v54, v101
	v_pk_fma_f16 v85, v60, v70, v85
	;; [unrolled: 1-line block ×12, first 2 shown]
	ds_read2_b64 v[56:59], v55 offset0:64 offset1:96
	v_pk_fma_f16 v53, v63, v54, v53
	v_pk_fma_f16 v54, v63, v70, v66
	;; [unrolled: 1-line block ×3, first 2 shown]
	v_mul_u32_u24_sdwa v68, v76, v48 dst_sel:DWORD dst_unused:UNUSED_PAD src0_sel:WORD_0 src1_sel:DWORD
	v_mul_u32_u24_sdwa v70, v76, v48 dst_sel:DWORD dst_unused:UNUSED_PAD src0_sel:WORD_1 src1_sel:DWORD
	v_mul_u32_u24_sdwa v72, v77, v48 dst_sel:DWORD dst_unused:UNUSED_PAD src0_sel:WORD_0 src1_sel:DWORD
	v_mul_u32_u24_sdwa v76, v77, v48 dst_sel:DWORD dst_unused:UNUSED_PAD src0_sel:WORD_1 src1_sel:DWORD
	v_pk_fma_f16 v63, v63, v74, v67
	s_waitcnt lgkmcnt(1)
	v_pk_fma_f16 v67, v5, v68, v69
	v_pk_fma_f16 v69, v5, v70, v71
	v_pk_fma_f16 v71, v5, v72, v73
	v_pk_fma_f16 v73, v5, v76, v75
	v_pk_fma_f16 v74, v6, v68, v89
	v_pk_fma_f16 v75, v6, v70, v92
	v_pk_fma_f16 v77, v6, v72, v82
	v_pk_fma_f16 v82, v6, v76, v93
	v_pk_fma_f16 v89, v7, v68, v94
	v_pk_fma_f16 v80, v7, v70, v80
	v_pk_fma_f16 v83, v7, v72, v83
	v_pk_fma_f16 v92, v7, v76, v95
	v_pk_fma_f16 v93, v8, v68, v96
	v_pk_fma_f16 v84, v8, v70, v84
	v_pk_fma_f16 v87, v8, v72, v87
	v_pk_fma_f16 v94, v8, v76, v97
	ds_read2_b64 v[5:8], v55 offset0:128 offset1:160
	s_waitcnt lgkmcnt(1)
	v_pk_fma_f16 v95, v56, v68, v98
	v_pk_fma_f16 v85, v56, v70, v85
	v_pk_fma_f16 v88, v56, v72, v88
	v_pk_fma_f16 v96, v56, v76, v60
	v_pk_fma_f16 v64, v57, v68, v64
	v_pk_fma_f16 v97, v57, v70, v99
	v_pk_fma_f16 v65, v58, v68, v65
	v_pk_fma_f16 v90, v58, v70, v90
	v_pk_fma_f16 v68, v59, v68, v53
	v_pk_fma_f16 v70, v59, v70, v54
	ds_read2_b64 v[53:56], v55 offset0:192 offset1:224
	v_pk_fma_f16 v86, v57, v72, v86
	v_pk_fma_f16 v61, v57, v76, v61
	;; [unrolled: 1-line block ×5, first 2 shown]
	v_mul_u32_u24_sdwa v72, v78, v48 dst_sel:DWORD dst_unused:UNUSED_PAD src0_sel:WORD_0 src1_sel:DWORD
	v_mul_u32_u24_sdwa v78, v78, v48 dst_sel:DWORD dst_unused:UNUSED_PAD src0_sel:WORD_1 src1_sel:DWORD
	v_mul_u32_u24_sdwa v98, v79, v48 dst_sel:DWORD dst_unused:UNUSED_PAD src0_sel:WORD_0 src1_sel:DWORD
	v_mul_u32_u24_sdwa v79, v79, v48 dst_sel:DWORD dst_unused:UNUSED_PAD src0_sel:WORD_1 src1_sel:DWORD
	v_pk_fma_f16 v76, v59, v76, v63
	ds_read_b128 v[57:60], v42 offset:960
	s_waitcnt lgkmcnt(2)
	v_pk_fma_f16 v99, v5, v72, v67
	v_pk_fma_f16 v69, v5, v78, v69
	;; [unrolled: 1-line block ×16, first 2 shown]
	ds_read2_b64 v[5:8], v52 offset1:32
	s_waitcnt lgkmcnt(2)
	v_pk_fma_f16 v95, v53, v72, v95
	v_pk_fma_f16 v85, v53, v78, v85
	;; [unrolled: 1-line block ×15, first 2 shown]
	ds_read2_b64 v[61:64], v52 offset0:64 offset1:96
	ds_read_b128 v[65:68], v42 offset:976
	s_waitcnt lgkmcnt(3)
	v_mul_u32_u24_sdwa v98, v57, v48 dst_sel:DWORD dst_unused:UNUSED_PAD src0_sel:WORD_0 src1_sel:DWORD
	v_mul_u32_u24_sdwa v57, v57, v48 dst_sel:DWORD dst_unused:UNUSED_PAD src0_sel:WORD_1 src1_sel:DWORD
	v_mul_u32_u24_sdwa v101, v58, v48 dst_sel:DWORD dst_unused:UNUSED_PAD src0_sel:WORD_0 src1_sel:DWORD
	v_mul_u32_u24_sdwa v58, v58, v48 dst_sel:DWORD dst_unused:UNUSED_PAD src0_sel:WORD_1 src1_sel:DWORD
	v_pk_fma_f16 v56, v56, v79, v76
	s_waitcnt lgkmcnt(2)
	v_pk_fma_f16 v76, v5, v98, v99
	v_pk_fma_f16 v69, v5, v57, v69
	;; [unrolled: 1-line block ×16, first 2 shown]
	ds_read2_b64 v[5:8], v52 offset0:128 offset1:160
	s_waitcnt lgkmcnt(2)
	v_pk_fma_f16 v94, v61, v98, v95
	v_pk_fma_f16 v85, v61, v57, v85
	;; [unrolled: 1-line block ×12, first 2 shown]
	ds_read2_b64 v[52:55], v52 offset0:192 offset1:224
	v_pk_fma_f16 v72, v64, v98, v72
	v_pk_fma_f16 v57, v64, v57, v70
	;; [unrolled: 1-line block ×3, first 2 shown]
	v_mul_u32_u24_sdwa v78, v59, v48 dst_sel:DWORD dst_unused:UNUSED_PAD src0_sel:WORD_0 src1_sel:DWORD
	v_mul_u32_u24_sdwa v59, v59, v48 dst_sel:DWORD dst_unused:UNUSED_PAD src0_sel:WORD_1 src1_sel:DWORD
	v_mul_u32_u24_sdwa v98, v60, v48 dst_sel:DWORD dst_unused:UNUSED_PAD src0_sel:WORD_0 src1_sel:DWORD
	v_mul_u32_u24_sdwa v60, v60, v48 dst_sel:DWORD dst_unused:UNUSED_PAD src0_sel:WORD_1 src1_sel:DWORD
	v_pk_fma_f16 v64, v64, v58, v56
	s_waitcnt lgkmcnt(1)
	v_pk_fma_f16 v76, v5, v78, v76
	v_pk_fma_f16 v69, v5, v59, v69
	;; [unrolled: 1-line block ×16, first 2 shown]
	ds_read2_b64 v[5:8], v51 offset1:32
	s_waitcnt lgkmcnt(1)
	v_pk_fma_f16 v94, v52, v78, v94
	v_pk_fma_f16 v85, v52, v59, v85
	;; [unrolled: 1-line block ×14, first 2 shown]
	ds_read2_b64 v[56:59], v51 offset0:64 offset1:96
	v_mul_u32_u24_sdwa v78, v65, v48 dst_sel:DWORD dst_unused:UNUSED_PAD src0_sel:WORD_0 src1_sel:DWORD
	v_mul_u32_u24_sdwa v65, v65, v48 dst_sel:DWORD dst_unused:UNUSED_PAD src0_sel:WORD_1 src1_sel:DWORD
	v_mul_u32_u24_sdwa v96, v66, v48 dst_sel:DWORD dst_unused:UNUSED_PAD src0_sel:WORD_0 src1_sel:DWORD
	v_mul_u32_u24_sdwa v66, v66, v48 dst_sel:DWORD dst_unused:UNUSED_PAD src0_sel:WORD_1 src1_sel:DWORD
	v_pk_fma_f16 v70, v55, v98, v70
	v_pk_fma_f16 v55, v55, v60, v64
	s_waitcnt lgkmcnt(1)
	v_pk_fma_f16 v60, v5, v78, v76
	v_pk_fma_f16 v64, v5, v65, v69
	;; [unrolled: 1-line block ×16, first 2 shown]
	ds_read2_b64 v[5:8], v51 offset0:128 offset1:160
	s_waitcnt lgkmcnt(1)
	v_pk_fma_f16 v92, v56, v78, v94
	v_pk_fma_f16 v93, v56, v66, v52
	;; [unrolled: 1-line block ×5, first 2 shown]
	ds_read2_b64 v[51:54], v51 offset0:192 offset1:224
	v_pk_fma_f16 v85, v56, v65, v85
	v_pk_fma_f16 v88, v56, v96, v88
	;; [unrolled: 1-line block ×10, first 2 shown]
	v_mul_u32_u24_sdwa v72, v67, v48 dst_sel:DWORD dst_unused:UNUSED_PAD src0_sel:WORD_0 src1_sel:DWORD
	v_mul_u32_u24_sdwa v67, v67, v48 dst_sel:DWORD dst_unused:UNUSED_PAD src0_sel:WORD_1 src1_sel:DWORD
	v_mul_u32_u24_sdwa v78, v68, v48 dst_sel:DWORD dst_unused:UNUSED_PAD src0_sel:WORD_0 src1_sel:DWORD
	v_mul_u32_u24_sdwa v68, v68, v48 dst_sel:DWORD dst_unused:UNUSED_PAD src0_sel:WORD_1 src1_sel:DWORD
	v_pk_fma_f16 v96, v59, v66, v55
	ds_read_b128 v[55:58], v42 offset:992
	s_waitcnt lgkmcnt(2)
	v_pk_fma_f16 v98, v5, v72, v60
	v_pk_fma_f16 v99, v5, v67, v64
	;; [unrolled: 1-line block ×16, first 2 shown]
	ds_read2_b64 v[5:8], v50 offset1:32
	s_waitcnt lgkmcnt(2)
	v_pk_fma_f16 v92, v51, v72, v92
	v_pk_fma_f16 v85, v51, v67, v85
	;; [unrolled: 1-line block ×12, first 2 shown]
	ds_read2_b64 v[59:62], v50 offset0:64 offset1:96
	ds_read_b128 v[63:66], v42 offset:1008
	v_pk_fma_f16 v91, v53, v78, v91
	v_pk_fma_f16 v53, v53, v68, v97
	v_pk_fma_f16 v70, v54, v78, v70
	s_waitcnt lgkmcnt(3)
	v_mul_u32_u24_sdwa v78, v55, v48 dst_sel:DWORD dst_unused:UNUSED_PAD src0_sel:WORD_0 src1_sel:DWORD
	v_mul_u32_u24_sdwa v55, v55, v48 dst_sel:DWORD dst_unused:UNUSED_PAD src0_sel:WORD_1 src1_sel:DWORD
	v_mul_u32_u24_sdwa v97, v56, v48 dst_sel:DWORD dst_unused:UNUSED_PAD src0_sel:WORD_0 src1_sel:DWORD
	v_mul_u32_u24_sdwa v56, v56, v48 dst_sel:DWORD dst_unused:UNUSED_PAD src0_sel:WORD_1 src1_sel:DWORD
	v_pk_fma_f16 v54, v54, v68, v96
	s_waitcnt lgkmcnt(2)
	v_pk_fma_f16 v68, v5, v78, v98
	v_pk_fma_f16 v96, v5, v55, v99
	;; [unrolled: 1-line block ×16, first 2 shown]
	s_waitcnt lgkmcnt(1)
	v_pk_fma_f16 v92, v59, v78, v92
	v_pk_fma_f16 v85, v59, v55, v85
	ds_read2_b64 v[5:8], v50 offset0:128 offset1:160
	v_pk_fma_f16 v88, v59, v97, v88
	v_pk_fma_f16 v59, v59, v56, v51
	v_pk_fma_f16 v93, v60, v78, v93
	v_pk_fma_f16 v94, v60, v55, v94
	v_pk_fma_f16 v86, v60, v97, v86
	v_pk_fma_f16 v60, v60, v56, v52
	v_pk_fma_f16 v95, v61, v78, v95
	v_pk_fma_f16 v90, v61, v55, v90
	v_pk_fma_f16 v91, v61, v97, v91
	v_pk_fma_f16 v61, v61, v56, v53
	ds_read2_b64 v[50:53], v50 offset0:192 offset1:224
	v_pk_fma_f16 v72, v62, v78, v72
	v_pk_fma_f16 v55, v62, v55, v67
	v_pk_fma_f16 v67, v62, v97, v70
	v_mul_u32_u24_sdwa v70, v57, v48 dst_sel:DWORD dst_unused:UNUSED_PAD src0_sel:WORD_0 src1_sel:DWORD
	v_mul_u32_u24_sdwa v57, v57, v48 dst_sel:DWORD dst_unused:UNUSED_PAD src0_sel:WORD_1 src1_sel:DWORD
	v_mul_u32_u24_sdwa v78, v58, v48 dst_sel:DWORD dst_unused:UNUSED_PAD src0_sel:WORD_0 src1_sel:DWORD
	v_mul_u32_u24_sdwa v58, v58, v48 dst_sel:DWORD dst_unused:UNUSED_PAD src0_sel:WORD_1 src1_sel:DWORD
	v_pk_fma_f16 v62, v62, v56, v54
	s_waitcnt lgkmcnt(1)
	v_pk_fma_f16 v68, v5, v70, v68
	v_pk_fma_f16 v96, v5, v57, v96
	;; [unrolled: 1-line block ×16, first 2 shown]
	s_waitcnt lgkmcnt(0)
	v_pk_fma_f16 v92, v50, v70, v92
	v_pk_fma_f16 v85, v50, v57, v85
	ds_read2_b64 v[5:8], v49 offset1:32
	v_pk_fma_f16 v88, v50, v78, v88
	v_pk_fma_f16 v50, v50, v58, v59
	;; [unrolled: 1-line block ×12, first 2 shown]
	ds_read2_b64 v[54:57], v49 offset0:64 offset1:96
	v_pk_fma_f16 v67, v53, v78, v67
	v_mul_u32_u24_sdwa v72, v63, v48 dst_sel:DWORD dst_unused:UNUSED_PAD src0_sel:WORD_0 src1_sel:DWORD
	v_mul_u32_u24_sdwa v63, v63, v48 dst_sel:DWORD dst_unused:UNUSED_PAD src0_sel:WORD_1 src1_sel:DWORD
	v_mul_u32_u24_sdwa v78, v64, v48 dst_sel:DWORD dst_unused:UNUSED_PAD src0_sel:WORD_0 src1_sel:DWORD
	v_mul_u32_u24_sdwa v64, v64, v48 dst_sel:DWORD dst_unused:UNUSED_PAD src0_sel:WORD_1 src1_sel:DWORD
	v_pk_fma_f16 v53, v53, v58, v62
	s_waitcnt lgkmcnt(1)
	v_pk_fma_f16 v58, v5, v72, v68
	v_pk_fma_f16 v62, v5, v63, v96
	;; [unrolled: 1-line block ×16, first 2 shown]
	s_waitcnt lgkmcnt(0)
	v_pk_fma_f16 v98, v54, v63, v85
	ds_read2_b64 v[5:8], v49 offset0:128 offset1:160
	ds_read2_b64 v[82:85], v49 offset0:192 offset1:224
	s_waitcnt lgkmcnt(0)
	s_barrier
	buffer_gl0_inv
	s_load_dword s0, s[6:7], 0x4
	v_pk_fma_f16 v92, v54, v72, v92
	v_pk_fma_f16 v88, v54, v78, v88
	;; [unrolled: 1-line block ×15, first 2 shown]
	v_mul_u32_u24_sdwa v107, v65, v48 dst_sel:DWORD dst_unused:UNUSED_PAD src0_sel:WORD_0 src1_sel:DWORD
	v_mul_u32_u24_sdwa v108, v65, v48 dst_sel:DWORD dst_unused:UNUSED_PAD src0_sel:WORD_1 src1_sel:DWORD
	v_mul_u32_u24_sdwa v109, v66, v48 dst_sel:DWORD dst_unused:UNUSED_PAD src0_sel:WORD_0 src1_sel:DWORD
	v_mul_u32_u24_sdwa v110, v66, v48 dst_sel:DWORD dst_unused:UNUSED_PAD src0_sel:WORD_1 src1_sel:DWORD
	s_waitcnt lgkmcnt(0)
	s_lshl_b32 s0, s0, 7
	v_pk_fma_f16 v68, v5, v107, v58
	v_pk_fma_f16 v65, v5, v108, v62
	;; [unrolled: 1-line block ×32, first 2 shown]
	s_add_i32 s8, s0, s8
	s_cmp_ge_i32 s8, s30
	s_cbranch_scc1 .LBB23_87
; %bb.86:                               ;   in Loop: Header=BB23_17 Depth=1
	v_mov_b32_e32 v89, v1
	v_mov_b32_e32 v87, v2
	;; [unrolled: 1-line block ×8, first 2 shown]
	s_branch .LBB23_17
.LBB23_87:
	v_mov_b32_e32 v6, v36
.LBB23_88:
	v_cmp_lt_i32_e32 vcc_lo, v13, v35
	s_cmp_lg_u64 s[16:17], 0
	s_cselect_b32 s0, -1, 0
	s_cmp_eq_u32 s28, 0
	v_cndmask_b32_e32 v5, v6, v13, vcc_lo
	v_cmp_lt_i32_e32 vcc_lo, v12, v35
	s_cselect_b32 s1, -1, 0
	s_and_b32 s0, s1, s0
	v_lshlrev_b32_e32 v5, 2, v5
	v_cndmask_b32_e32 v12, v6, v12, vcc_lo
	v_cmp_lt_i32_e32 vcc_lo, v11, v35
	ds_bpermute_b32 v7, v5, v14
	ds_bpermute_b32 v8, v5, v15
	;; [unrolled: 1-line block ×4, first 2 shown]
	v_lshlrev_b32_e32 v12, 2, v12
	v_cndmask_b32_e32 v11, v6, v11, vcc_lo
	v_cmp_lt_i32_e32 vcc_lo, v10, v35
	v_lshlrev_b32_e32 v11, 2, v11
	v_cndmask_b32_e32 v10, v6, v10, vcc_lo
	v_cmp_lt_i32_e32 vcc_lo, v9, v35
	v_lshlrev_b32_e32 v10, 2, v10
	v_cndmask_b32_e32 v6, v6, v9, vcc_lo
	s_and_b32 vcc_lo, exec_lo, s0
	s_waitcnt lgkmcnt(3)
	v_add_f32_e32 v7, v14, v7
	s_waitcnt lgkmcnt(2)
	v_add_f32_e32 v8, v15, v8
	;; [unrolled: 2-line block ×4, first 2 shown]
	v_lshlrev_b32_e32 v6, 2, v6
	ds_bpermute_b32 v14, v12, v7
	ds_bpermute_b32 v15, v12, v8
	ds_bpermute_b32 v16, v12, v13
	ds_bpermute_b32 v12, v12, v5
	s_waitcnt lgkmcnt(3)
	v_add_f32_e32 v7, v7, v14
	s_waitcnt lgkmcnt(2)
	v_add_f32_e32 v8, v8, v15
	s_waitcnt lgkmcnt(1)
	v_add_f32_e32 v13, v13, v16
	s_waitcnt lgkmcnt(0)
	v_add_f32_e32 v5, v5, v12
	ds_bpermute_b32 v12, v11, v7
	ds_bpermute_b32 v14, v11, v8
	ds_bpermute_b32 v15, v11, v13
	ds_bpermute_b32 v11, v11, v5
	s_waitcnt lgkmcnt(3)
	v_add_f32_e32 v7, v7, v12
	s_waitcnt lgkmcnt(2)
	v_add_f32_e32 v8, v8, v14
	s_waitcnt lgkmcnt(1)
	v_add_f32_e32 v12, v13, v15
	s_waitcnt lgkmcnt(0)
	v_add_f32_e32 v5, v5, v11
	;; [unrolled: 12-line block ×4, first 2 shown]
	s_cbranch_vccz .LBB23_91
; %bb.89:
	v_add_nc_u32_e32 v9, s29, v31
	v_max_f32_e32 v13, v1, v1
	v_max_f32_e32 v14, v2, v2
	;; [unrolled: 1-line block ×4, first 2 shown]
	v_ashrrev_i32_e32 v10, 31, v9
	v_mov_b32_e32 v22, 0x10001
	v_lshlrev_b64 v[9:10], 2, v[9:10]
	v_add_co_u32 v9, vcc_lo, s16, v9
	v_add_co_ci_u32_e64 v10, null, s17, v10, vcc_lo
	global_load_dwordx4 v[9:12], v[9:10], off
	s_waitcnt vmcnt(0)
	v_max_f32_e32 v16, v9, v9
	v_max_f32_e32 v19, v10, v10
	;; [unrolled: 1-line block ×8, first 2 shown]
	v_sub_f32_e32 v18, v1, v13
	v_sub_f32_e32 v19, v2, v14
	;; [unrolled: 1-line block ×4, first 2 shown]
	v_mov_b32_e32 v1, v13
	v_sub_f32_e32 v9, v9, v13
	v_mov_b32_e32 v2, v14
	v_mov_b32_e32 v3, v15
	;; [unrolled: 1-line block ×3, first 2 shown]
	v_mul_f32_e32 v13, 0x3fb8aa3b, v18
	v_sub_f32_e32 v10, v10, v14
	v_mul_f32_e32 v14, 0x3fb8aa3b, v9
	v_sub_f32_e32 v11, v11, v15
	v_mul_f32_e32 v15, 0x3fb8aa3b, v19
	v_fma_f32 v27, 0x3fb8aa3b, v18, -v13
	v_rndne_f32_e32 v28, v13
	v_fma_f32 v29, 0x3fb8aa3b, v9, -v14
	v_rndne_f32_e32 v30, v14
	v_sub_f32_e32 v12, v12, v16
	v_fmac_f32_e32 v27, 0x32a5705f, v18
	v_sub_f32_e32 v13, v13, v28
	v_mul_f32_e32 v16, 0x3fb8aa3b, v10
	v_fma_f32 v33, 0x3fb8aa3b, v19, -v15
	v_rndne_f32_e32 v34, v15
	v_fmac_f32_e32 v29, 0x32a5705f, v9
	v_sub_f32_e32 v14, v14, v30
	v_add_f32_e32 v13, v13, v27
	v_mul_f32_e32 v23, 0x3fb8aa3b, v20
	v_fma_f32 v35, 0x3fb8aa3b, v10, -v16
	v_rndne_f32_e32 v36, v16
	v_fmac_f32_e32 v33, 0x32a5705f, v19
	v_sub_f32_e32 v15, v15, v34
	v_add_f32_e32 v14, v14, v29
	v_exp_f32_e32 v13, v13
	v_mul_f32_e32 v24, 0x3fb8aa3b, v11
	v_fma_f32 v37, 0x3fb8aa3b, v20, -v23
	v_rndne_f32_e32 v38, v23
	v_cvt_i32_f32_e32 v28, v28
	v_fmac_f32_e32 v35, 0x32a5705f, v10
	v_sub_f32_e32 v16, v16, v36
	v_add_f32_e32 v15, v15, v33
	v_exp_f32_e32 v14, v14
	v_mul_f32_e32 v25, 0x3fb8aa3b, v21
	v_fma_f32 v39, 0x3fb8aa3b, v11, -v24
	v_rndne_f32_e32 v40, v24
	v_cvt_i32_f32_e32 v30, v30
	v_fmac_f32_e32 v37, 0x32a5705f, v20
	v_sub_f32_e32 v23, v23, v38
	v_add_f32_e32 v16, v16, v35
	v_exp_f32_e32 v15, v15
	v_ldexp_f32 v13, v13, v28
	v_cmp_ngt_f32_e32 vcc_lo, 0xc2ce8ed0, v18
	v_mul_f32_e32 v26, 0x3fb8aa3b, v12
	v_fma_f32 v41, 0x3fb8aa3b, v21, -v25
	v_rndne_f32_e32 v42, v25
	v_cvt_i32_f32_e32 v34, v34
	v_fmac_f32_e32 v39, 0x32a5705f, v11
	v_sub_f32_e32 v24, v24, v40
	v_add_f32_e32 v23, v23, v37
	v_exp_f32_e32 v16, v16
	v_ldexp_f32 v14, v14, v30
	v_cndmask_b32_e32 v13, 0, v13, vcc_lo
	v_cmp_ngt_f32_e32 vcc_lo, 0xc2ce8ed0, v9
	v_fma_f32 v43, 0x3fb8aa3b, v12, -v26
	v_rndne_f32_e32 v44, v26
	v_cvt_i32_f32_e32 v36, v36
	v_fmac_f32_e32 v41, 0x32a5705f, v21
	v_sub_f32_e32 v25, v25, v42
	v_add_f32_e32 v24, v24, v39
	v_exp_f32_e32 v23, v23
	v_ldexp_f32 v15, v15, v34
	v_cndmask_b32_e32 v14, 0, v14, vcc_lo
	v_cmp_ngt_f32_e32 vcc_lo, 0xc2ce8ed0, v19
	v_cvt_i32_f32_e32 v38, v38
	v_fmac_f32_e32 v43, 0x32a5705f, v12
	v_sub_f32_e32 v26, v26, v44
	v_add_f32_e32 v25, v25, v41
	v_exp_f32_e32 v24, v24
	v_ldexp_f32 v16, v16, v36
	v_cndmask_b32_e32 v15, 0, v15, vcc_lo
	v_cmp_ngt_f32_e32 vcc_lo, 0xc2ce8ed0, v10
	v_cvt_i32_f32_e32 v40, v40
	v_add_f32_e32 v26, v26, v43
	v_exp_f32_e32 v25, v25
	v_ldexp_f32 v23, v23, v38
	v_cndmask_b32_e32 v16, 0, v16, vcc_lo
	v_cmp_ngt_f32_e32 vcc_lo, 0xc2ce8ed0, v20
	v_exp_f32_e32 v26, v26
	v_cvt_i32_f32_e32 v27, v42
	v_ldexp_f32 v24, v24, v40
	v_cvt_i32_f32_e32 v29, v44
	v_cndmask_b32_e32 v23, 0, v23, vcc_lo
	v_cmp_ngt_f32_e32 vcc_lo, 0xc2ce8ed0, v11
	v_ldexp_f32 v25, v25, v27
	v_cndmask_b32_e32 v24, 0, v24, vcc_lo
	v_cmp_ngt_f32_e32 vcc_lo, 0xc2ce8ed0, v21
	v_ldexp_f32 v26, v26, v29
	v_cndmask_b32_e32 v25, 0, v25, vcc_lo
	v_cmp_ngt_f32_e32 vcc_lo, 0xc2ce8ed0, v12
	v_cndmask_b32_e32 v26, 0, v26, vcc_lo
	v_cmp_nlt_f32_e32 vcc_lo, 0x42b17218, v18
	v_cndmask_b32_e32 v13, 0x7f800000, v13, vcc_lo
	v_cmp_nlt_f32_e32 vcc_lo, 0x42b17218, v9
	;; [unrolled: 2-line block ×3, first 2 shown]
	v_fmac_f32_e32 v9, v5, v13
	v_cndmask_b32_e32 v14, 0x7f800000, v15, vcc_lo
	v_cmp_nlt_f32_e32 vcc_lo, 0x42b17218, v10
	v_cvt_f16_f32_e32 v5, v13
	v_cndmask_b32_e32 v10, 0x7f800000, v16, vcc_lo
	v_cmp_nlt_f32_e32 vcc_lo, 0x42b17218, v20
	v_fmac_f32_e32 v10, v6, v14
	v_cndmask_b32_e32 v15, 0x7f800000, v23, vcc_lo
	v_cmp_nlt_f32_e32 vcc_lo, 0x42b17218, v11
	v_cvt_f16_f32_e32 v6, v14
	v_cndmask_b32_e32 v11, 0x7f800000, v24, vcc_lo
	v_cmp_nlt_f32_e32 vcc_lo, 0x42b17218, v21
	v_mul_u32_u24_sdwa v14, v6, v22 dst_sel:DWORD dst_unused:UNUSED_PAD src0_sel:WORD_0 src1_sel:DWORD
	v_mov_b32_e32 v6, v10
	v_fmac_f32_e32 v11, v7, v15
	v_cndmask_b32_e32 v16, 0x7f800000, v25, vcc_lo
	v_cmp_nlt_f32_e32 vcc_lo, 0x42b17218, v12
	v_cvt_f16_f32_e32 v7, v15
	v_pk_mul_f16 v65, v65, v14
	v_pk_mul_f16 v73, v73, v14
	v_cvt_f16_f32_e32 v13, v16
	v_cndmask_b32_e32 v12, 0x7f800000, v26, vcc_lo
	v_mul_u32_u24_sdwa v15, v7, v22 dst_sel:DWORD dst_unused:UNUSED_PAD src0_sel:WORD_0 src1_sel:DWORD
	v_mov_b32_e32 v7, v11
	v_pk_mul_f16 v70, v70, v14
	v_mul_u32_u24_sdwa v13, v13, v22 dst_sel:DWORD dst_unused:UNUSED_PAD src0_sel:WORD_0 src1_sel:DWORD
	v_fmac_f32_e32 v12, v8, v16
	v_mul_u32_u24_sdwa v8, v5, v22 dst_sel:DWORD dst_unused:UNUSED_PAD src0_sel:WORD_0 src1_sel:DWORD
	v_mov_b32_e32 v5, v9
	v_pk_mul_f16 v72, v72, v14
	v_pk_mul_f16 v69, v69, v14
	;; [unrolled: 1-line block ×29, first 2 shown]
	v_mov_b32_e32 v8, v12
	s_mov_b32 s0, exec_lo
	v_cmpx_gt_i32_e64 s2, v17
	s_cbranch_execnz .LBB23_92
.LBB23_90:
	s_endpgm
.LBB23_91:
	v_mov_b32_e32 v12, v8
	v_mov_b32_e32 v11, v7
	;; [unrolled: 1-line block ×4, first 2 shown]
	s_mov_b32 s0, exec_lo
	v_cmpx_gt_i32_e64 s2, v17
	s_cbranch_execz .LBB23_90
.LBB23_92:
	s_load_dword s1, s[4:5], 0xd4
	v_mov_b32_e32 v15, 1.0
	s_waitcnt lgkmcnt(0)
	s_cmp_lg_u32 s1, 1
	s_cselect_b32 s5, -1, 0
	s_cmp_eq_u32 s1, 1
	s_cselect_b32 s4, -1, 0
	s_and_b32 vcc_lo, exec_lo, s5
	s_cbranch_vccnz .LBB23_94
; %bb.93:
	v_div_scale_f32 v13, null, v5, v5, 1.0
	v_rcp_f32_e32 v14, v13
	v_fma_f32 v15, -v13, v14, 1.0
	v_fmac_f32_e32 v14, v15, v14
	v_div_scale_f32 v15, vcc_lo, 1.0, v5, 1.0
	v_mul_f32_e32 v16, v15, v14
	v_fma_f32 v18, -v13, v16, v15
	v_fmac_f32_e32 v16, v18, v14
	v_fma_f32 v13, -v13, v16, v15
	v_div_fmas_f32 v13, v13, v14, v16
	v_div_fixup_f32 v15, v13, v5, 1.0
.LBB23_94:
	v_mad_u64_u32 v[13:14], null, s33, s2, v[17:18]
	v_cvt_f32_f16_sdwa v16, v68 dst_sel:DWORD dst_unused:UNUSED_PAD src0_sel:WORD_1
	v_cvt_f32_f16_e32 v20, v68
	v_mov_b32_e32 v29, 0
	v_cvt_f32_f16_sdwa v21, v80 dst_sel:DWORD dst_unused:UNUSED_PAD src0_sel:WORD_1
	v_cvt_f32_f16_sdwa v24, v76 dst_sel:DWORD dst_unused:UNUSED_PAD src0_sel:WORD_1
	v_cvt_f32_f16_e32 v25, v76
	v_mul_lo_u32 v13, v13, s3
	v_mul_f32_e32 v17, v15, v16
	v_mul_f32_e32 v16, v15, v20
	;; [unrolled: 1-line block ×5, first 2 shown]
	v_mov_b32_e32 v25, v29
	v_cvt_f32_f16_sdwa v26, v78 dst_sel:DWORD dst_unused:UNUSED_PAD src0_sel:WORD_1
	v_add3_u32 v13, s29, v31, v13
	v_mov_b32_e32 v31, v29
	v_cvt_f32_f16_e32 v35, v78
	v_cmp_eq_u32_e32 vcc_lo, 0, v0
	v_cvt_f32_f16_sdwa v0, v79 dst_sel:DWORD dst_unused:UNUSED_PAD src0_sel:WORD_1
	v_mad_u64_u32 v[13:14], null, s1, v13, s[28:29]
	v_cvt_f32_f16_e32 v14, v77
	v_cvt_f32_f16_e32 v5, v79
	v_cvt_f32_f16_sdwa v37, v77 dst_sel:DWORD dst_unused:UNUSED_PAD src0_sel:WORD_1
	v_cvt_f32_f16_e32 v22, v80
	v_mul_f32_e32 v27, v15, v26
	v_mul_f32_e32 v26, v15, v35
	v_lshl_add_u32 v28, v13, 9, v32
	v_mul_f32_e32 v19, v15, v0
	v_mul_f32_e32 v18, v15, v5
	v_cvt_f32_f16_sdwa v0, v75 dst_sel:DWORD dst_unused:UNUSED_PAD src0_sel:WORD_1
	v_cvt_f32_f16_e32 v5, v75
	v_add_nc_u32_e32 v24, 0x80, v28
	v_add_nc_u32_e32 v30, 0x100, v28
	v_lshlrev_b64 v[33:34], 2, v[28:29]
	v_add_nc_u32_e32 v28, 0x180, v28
	v_cvt_f32_f16_e32 v41, v74
	v_lshlrev_b64 v[24:25], 2, v[24:25]
	v_lshlrev_b64 v[30:31], 2, v[30:31]
	v_mul_f32_e32 v22, v15, v22
	v_add_co_u32 v33, s0, s20, v33
	v_lshlrev_b64 v[39:40], 2, v[28:29]
	v_add_co_ci_u32_e64 v34, null, s21, v34, s0
	v_add_co_u32 v35, s0, s20, v24
	v_mul_f32_e32 v24, v15, v14
	v_cvt_f32_f16_sdwa v14, v74 dst_sel:DWORD dst_unused:UNUSED_PAD src0_sel:WORD_1
	v_add_co_ci_u32_e64 v36, null, s21, v25, s0
	v_mul_f32_e32 v25, v15, v37
	v_add_co_u32 v37, s0, s20, v30
	v_add_co_ci_u32_e64 v38, null, s21, v31, s0
	v_mul_f32_e32 v29, v15, v14
	v_add_co_u32 v14, s0, s20, v39
	v_mul_f32_e32 v31, v15, v0
	v_mul_f32_e32 v30, v15, v5
	v_mul_f32_e32 v28, v15, v41
	v_add_co_ci_u32_e64 v15, null, s21, v40, s0
	s_and_b32 s0, vcc_lo, s5
	global_store_dwordx4 v[33:34], v[16:19], off
	global_store_dwordx4 v[35:36], v[20:23], off
	;; [unrolled: 1-line block ×4, first 2 shown]
	s_and_saveexec_b32 s2, s0
	s_cbranch_execz .LBB23_96
; %bb.95:
	v_ashrrev_i32_e32 v14, 31, v13
	v_mov_b32_e32 v0, v1
	v_mov_b32_e32 v1, v9
	v_lshlrev_b64 v[14:15], 3, v[13:14]
	v_add_co_u32 v14, vcc_lo, s22, v14
	v_add_co_ci_u32_e64 v15, null, s23, v15, vcc_lo
	global_store_dwordx2 v[14:15], v[0:1], off
.LBB23_96:
	s_or_b32 exec_lo, exec_lo, s2
	v_cndmask_b32_e64 v5, 0, 1, s4
	v_mov_b32_e32 v1, 1.0
	s_andn2_b32 vcc_lo, exec_lo, s4
	s_cbranch_vccnz .LBB23_98
; %bb.97:
	v_div_scale_f32 v0, null, v6, v6, 1.0
	v_rcp_f32_e32 v1, v0
	v_fma_f32 v9, -v0, v1, 1.0
	v_fmac_f32_e32 v1, v9, v1
	v_div_scale_f32 v9, vcc_lo, 1.0, v6, 1.0
	v_mul_f32_e32 v14, v9, v1
	v_fma_f32 v15, -v0, v14, v9
	v_fmac_f32_e32 v14, v15, v1
	v_fma_f32 v0, -v0, v14, v9
	v_div_fmas_f32 v0, v0, v1, v14
	v_div_fixup_f32 v1, v0, v6, 1.0
.LBB23_98:
	v_add_nc_u32_e32 v0, s1, v13
	v_mov_b32_e32 v26, 0
	v_cvt_f32_f16_sdwa v13, v65 dst_sel:DWORD dst_unused:UNUSED_PAD src0_sel:WORD_1
	v_cvt_f32_f16_e32 v19, v65
	v_cvt_f32_f16_sdwa v6, v73 dst_sel:DWORD dst_unused:UNUSED_PAD src0_sel:WORD_1
	v_lshl_add_u32 v25, v0, 9, v32
	v_mov_b32_e32 v20, v26
	v_mul_f32_e32 v14, v1, v13
	v_mul_f32_e32 v13, v1, v19
	v_cvt_f32_f16_e32 v9, v73
	v_add_nc_u32_e32 v19, 0x80, v25
	v_lshlrev_b64 v[17:18], 2, v[25:26]
	v_mul_f32_e32 v16, v1, v6
	v_cvt_f32_f16_sdwa v6, v72 dst_sel:DWORD dst_unused:UNUSED_PAD src0_sel:WORD_1
	v_mul_f32_e32 v15, v1, v9
	v_lshlrev_b64 v[21:22], 2, v[19:20]
	v_cvt_f32_f16_e32 v9, v72
	v_add_co_u32 v29, vcc_lo, s20, v17
	v_add_co_ci_u32_e64 v30, null, s21, v18, vcc_lo
	v_add_co_u32 v33, vcc_lo, s20, v21
	v_add_co_ci_u32_e64 v34, null, s21, v22, vcc_lo
	v_add_nc_u32_e32 v21, 0x100, v25
	v_mov_b32_e32 v22, v26
	v_add_nc_u32_e32 v25, 0x180, v25
	v_cvt_f32_f16_sdwa v17, v70 dst_sel:DWORD dst_unused:UNUSED_PAD src0_sel:WORD_1
	v_cvt_f32_f16_e32 v23, v70
	v_mul_f32_e32 v20, v1, v6
	v_mul_f32_e32 v19, v1, v9
	v_cvt_f32_f16_sdwa v6, v71 dst_sel:DWORD dst_unused:UNUSED_PAD src0_sel:WORD_1
	v_cvt_f32_f16_e32 v9, v71
	v_cvt_f32_f16_sdwa v31, v69 dst_sel:DWORD dst_unused:UNUSED_PAD src0_sel:WORD_1
	v_lshlrev_b64 v[27:28], 2, v[21:22]
	v_cvt_f32_f16_e32 v35, v69
	v_lshlrev_b64 v[37:38], 2, v[25:26]
	v_mul_f32_e32 v18, v1, v17
	v_mul_f32_e32 v17, v1, v23
	;; [unrolled: 1-line block ×5, first 2 shown]
	v_cvt_f32_f16_sdwa v6, v66 dst_sel:DWORD dst_unused:UNUSED_PAD src0_sel:WORD_1
	v_cvt_f32_f16_e32 v9, v66
	v_cvt_f32_f16_sdwa v31, v67 dst_sel:DWORD dst_unused:UNUSED_PAD src0_sel:WORD_1
	v_cvt_f32_f16_e32 v39, v67
	v_mul_f32_e32 v21, v1, v35
	v_add_co_u32 v35, vcc_lo, s20, v27
	v_add_co_ci_u32_e64 v36, null, s21, v28, vcc_lo
	v_add_co_u32 v37, vcc_lo, s20, v37
	v_mul_f32_e32 v28, v1, v6
	v_mul_f32_e32 v27, v1, v9
	;; [unrolled: 1-line block ×4, first 2 shown]
	v_add_co_ci_u32_e64 v38, null, s21, v38, vcc_lo
	global_store_dwordx4 v[29:30], v[13:16], off
	global_store_dwordx4 v[33:34], v[17:20], off
	;; [unrolled: 1-line block ×4, first 2 shown]
	s_and_saveexec_b32 s2, s0
	s_cbranch_execz .LBB23_100
; %bb.99:
	v_ashrrev_i32_e32 v1, 31, v0
	v_mov_b32_e32 v9, v2
	v_lshlrev_b64 v[13:14], 3, v[0:1]
	v_add_co_u32 v13, vcc_lo, s22, v13
	v_add_co_ci_u32_e64 v14, null, s23, v14, vcc_lo
	global_store_dwordx2 v[13:14], v[9:10], off
.LBB23_100:
	s_or_b32 exec_lo, exec_lo, s2
	v_cmp_ne_u32_e32 vcc_lo, 1, v5
	v_mov_b32_e32 v1, 1.0
	s_cbranch_vccnz .LBB23_102
; %bb.101:
	v_div_scale_f32 v1, null, v7, v7, 1.0
	v_rcp_f32_e32 v2, v1
	v_fma_f32 v6, -v1, v2, 1.0
	v_fmac_f32_e32 v2, v6, v2
	v_div_scale_f32 v6, vcc_lo, 1.0, v7, 1.0
	v_mul_f32_e32 v9, v6, v2
	v_fma_f32 v10, -v1, v9, v6
	v_fmac_f32_e32 v9, v10, v2
	v_fma_f32 v1, -v1, v9, v6
	v_div_fmas_f32 v1, v1, v2, v9
	v_div_fixup_f32 v1, v1, v7, 1.0
.LBB23_102:
	v_add_nc_u32_e32 v0, s1, v0
	v_mov_b32_e32 v7, 0
	v_cvt_f32_f16_e32 v13, v64
	v_cvt_f32_f16_e32 v17, v59
	v_cvt_f32_f16_sdwa v2, v64 dst_sel:DWORD dst_unused:UNUSED_PAD src0_sel:WORD_1
	v_lshl_add_u32 v6, v0, 9, v32
	v_mov_b32_e32 v18, v7
	v_mul_f32_e32 v15, v1, v13
	v_mul_f32_e32 v13, v1, v17
	;; [unrolled: 1-line block ×3, first 2 shown]
	v_add_nc_u32_e32 v17, 0x80, v6
	v_lshlrev_b64 v[9:10], 2, v[6:7]
	v_cvt_f32_f16_sdwa v2, v62 dst_sel:DWORD dst_unused:UNUSED_PAD src0_sel:WORD_1
	v_cvt_f32_f16_sdwa v23, v63 dst_sel:DWORD dst_unused:UNUSED_PAD src0_sel:WORD_1
	v_cvt_f32_f16_e32 v24, v63
	v_lshlrev_b64 v[21:22], 2, v[17:18]
	v_cvt_f32_f16_sdwa v14, v59 dst_sel:DWORD dst_unused:UNUSED_PAD src0_sel:WORD_1
	v_add_co_u32 v9, vcc_lo, s20, v9
	v_add_co_ci_u32_e64 v10, null, s21, v10, vcc_lo
	v_add_co_u32 v29, vcc_lo, s20, v21
	v_add_co_ci_u32_e64 v30, null, s21, v22, vcc_lo
	v_add_nc_u32_e32 v21, 0x100, v6
	v_mov_b32_e32 v22, v7
	v_add_nc_u32_e32 v6, 0x180, v6
	v_mul_f32_e32 v20, v1, v2
	v_cvt_f32_f16_sdwa v2, v61 dst_sel:DWORD dst_unused:UNUSED_PAD src0_sel:WORD_1
	v_cvt_f32_f16_e32 v19, v62
	v_lshlrev_b64 v[25:26], 2, v[21:22]
	v_lshlrev_b64 v[6:7], 2, v[6:7]
	v_mul_f32_e32 v18, v1, v23
	v_mul_f32_e32 v17, v1, v24
	v_cvt_f32_f16_e32 v23, v61
	v_cvt_f32_f16_sdwa v27, v60 dst_sel:DWORD dst_unused:UNUSED_PAD src0_sel:WORD_1
	v_add_co_u32 v33, vcc_lo, s20, v25
	v_cvt_f32_f16_e32 v28, v60
	v_mul_f32_e32 v24, v1, v2
	v_add_co_ci_u32_e64 v34, null, s21, v26, vcc_lo
	v_cvt_f32_f16_sdwa v2, v58 dst_sel:DWORD dst_unused:UNUSED_PAD src0_sel:WORD_1
	v_cvt_f32_f16_e32 v25, v58
	v_cvt_f32_f16_sdwa v26, v57 dst_sel:DWORD dst_unused:UNUSED_PAD src0_sel:WORD_1
	v_cvt_f32_f16_e32 v31, v57
	v_mul_f32_e32 v14, v1, v14
	v_mul_f32_e32 v19, v1, v19
	;; [unrolled: 1-line block ×9, first 2 shown]
	v_add_co_u32 v1, vcc_lo, s20, v6
	v_add_co_ci_u32_e64 v2, null, s21, v7, vcc_lo
	global_store_dwordx4 v[9:10], v[13:16], off
	global_store_dwordx4 v[29:30], v[17:20], off
	;; [unrolled: 1-line block ×4, first 2 shown]
	s_and_saveexec_b32 s2, s0
	s_cbranch_execz .LBB23_104
; %bb.103:
	v_ashrrev_i32_e32 v1, 31, v0
	v_mov_b32_e32 v10, v3
	v_lshlrev_b64 v[1:2], 3, v[0:1]
	v_add_co_u32 v1, vcc_lo, s22, v1
	v_add_co_ci_u32_e64 v2, null, s23, v2, vcc_lo
	global_store_dwordx2 v[1:2], v[10:11], off
.LBB23_104:
	s_or_b32 exec_lo, exec_lo, s2
	v_cmp_ne_u32_e32 vcc_lo, 1, v5
	v_mov_b32_e32 v1, 1.0
	s_cbranch_vccnz .LBB23_106
; %bb.105:
	v_div_scale_f32 v1, null, v8, v8, 1.0
	v_rcp_f32_e32 v2, v1
	v_fma_f32 v3, -v1, v2, 1.0
	v_fmac_f32_e32 v2, v3, v2
	v_div_scale_f32 v3, vcc_lo, 1.0, v8, 1.0
	v_mul_f32_e32 v5, v3, v2
	v_fma_f32 v6, -v1, v5, v3
	v_fmac_f32_e32 v5, v6, v2
	v_fma_f32 v1, -v1, v5, v3
	v_div_fmas_f32 v1, v1, v2, v5
	v_div_fixup_f32 v1, v1, v8, 1.0
.LBB23_106:
	v_add_nc_u32_e32 v0, s1, v0
	v_cvt_f32_f16_sdwa v5, v56 dst_sel:DWORD dst_unused:UNUSED_PAD src0_sel:WORD_1
	v_mov_b32_e32 v3, 0
	v_cvt_f32_f16_e32 v13, v54
	v_cvt_f32_f16_e32 v6, v56
	v_lshl_add_u32 v2, v0, 9, v32
	v_mul_f32_e32 v8, v1, v5
	v_mov_b32_e32 v14, v3
	v_mul_f32_e32 v5, v1, v13
	v_cvt_f32_f16_sdwa v11, v54 dst_sel:DWORD dst_unused:UNUSED_PAD src0_sel:WORD_1
	v_add_nc_u32_e32 v13, 0x80, v2
	v_lshlrev_b64 v[9:10], 2, v[2:3]
	v_mul_f32_e32 v7, v1, v6
	v_cvt_f32_f16_sdwa v19, v51 dst_sel:DWORD dst_unused:UNUSED_PAD src0_sel:WORD_1
	v_mul_f32_e32 v6, v1, v11
	v_lshlrev_b64 v[17:18], 2, v[13:14]
	v_cvt_f32_f16_sdwa v11, v55 dst_sel:DWORD dst_unused:UNUSED_PAD src0_sel:WORD_1
	v_add_co_u32 v9, vcc_lo, s20, v9
	v_add_co_ci_u32_e64 v10, null, s21, v10, vcc_lo
	v_add_co_u32 v25, vcc_lo, s20, v17
	v_add_co_ci_u32_e64 v26, null, s21, v18, vcc_lo
	v_add_nc_u32_e32 v17, 0x100, v2
	v_mov_b32_e32 v18, v3
	v_add_nc_u32_e32 v2, 0x180, v2
	v_cvt_f32_f16_e32 v20, v51
	v_mul_f32_e32 v16, v1, v11
	v_cvt_f32_f16_sdwa v11, v53 dst_sel:DWORD dst_unused:UNUSED_PAD src0_sel:WORD_1
	v_lshlrev_b64 v[21:22], 2, v[17:18]
	v_lshlrev_b64 v[2:3], 2, v[2:3]
	v_cvt_f32_f16_e32 v15, v55
	v_mul_f32_e32 v14, v1, v19
	v_mul_f32_e32 v13, v1, v20
	v_cvt_f32_f16_e32 v19, v53
	v_add_co_u32 v27, vcc_lo, s20, v21
	v_cvt_f32_f16_sdwa v23, v52 dst_sel:DWORD dst_unused:UNUSED_PAD src0_sel:WORD_1
	v_cvt_f32_f16_e32 v24, v52
	v_mul_f32_e32 v20, v1, v11
	v_add_co_ci_u32_e64 v28, null, s21, v22, vcc_lo
	v_cvt_f32_f16_sdwa v11, v49 dst_sel:DWORD dst_unused:UNUSED_PAD src0_sel:WORD_1
	v_cvt_f32_f16_e32 v21, v49
	v_cvt_f32_f16_sdwa v22, v50 dst_sel:DWORD dst_unused:UNUSED_PAD src0_sel:WORD_1
	v_cvt_f32_f16_e32 v29, v50
	v_mul_f32_e32 v15, v1, v15
	v_mul_f32_e32 v19, v1, v19
	;; [unrolled: 1-line block ×8, first 2 shown]
	v_add_co_u32 v1, vcc_lo, s20, v2
	v_add_co_ci_u32_e64 v2, null, s21, v3, vcc_lo
	global_store_dwordx4 v[9:10], v[5:8], off
	global_store_dwordx4 v[25:26], v[13:16], off
	;; [unrolled: 1-line block ×4, first 2 shown]
	s_and_b32 exec_lo, exec_lo, s0
	s_cbranch_execz .LBB23_90
; %bb.107:
	v_ashrrev_i32_e32 v1, 31, v0
	v_mov_b32_e32 v11, v4
	v_lshlrev_b64 v[0:1], 3, v[0:1]
	v_add_co_u32 v0, vcc_lo, s22, v0
	v_add_co_ci_u32_e64 v1, null, s23, v1, vcc_lo
	global_store_dwordx2 v[0:1], v[11:12], off
	s_endpgm
	.section	.rodata,"a",@progbits
	.p2align	6, 0x0
	.amdhsa_kernel _ZL15flash_attn_tileILi576ELi512ELi2ELi16ELb1EEvPKcS1_S1_S1_S1_PKiPfP15HIP_vector_typeIfLj2EEffffjfiS5_IjLj3EEiiiiiiiiiiiliiliiiiil
		.amdhsa_group_segment_fixed_size 63488
		.amdhsa_private_segment_fixed_size 0
		.amdhsa_kernarg_size 464
		.amdhsa_user_sgpr_count 6
		.amdhsa_user_sgpr_private_segment_buffer 1
		.amdhsa_user_sgpr_dispatch_ptr 0
		.amdhsa_user_sgpr_queue_ptr 0
		.amdhsa_user_sgpr_kernarg_segment_ptr 1
		.amdhsa_user_sgpr_dispatch_id 0
		.amdhsa_user_sgpr_flat_scratch_init 0
		.amdhsa_user_sgpr_private_segment_size 0
		.amdhsa_wavefront_size32 1
		.amdhsa_uses_dynamic_stack 0
		.amdhsa_system_sgpr_private_segment_wavefront_offset 0
		.amdhsa_system_sgpr_workgroup_id_x 1
		.amdhsa_system_sgpr_workgroup_id_y 1
		.amdhsa_system_sgpr_workgroup_id_z 1
		.amdhsa_system_sgpr_workgroup_info 0
		.amdhsa_system_vgpr_workitem_id 1
		.amdhsa_next_free_vgpr 203
		.amdhsa_next_free_sgpr 41
		.amdhsa_reserve_vcc 1
		.amdhsa_reserve_flat_scratch 0
		.amdhsa_float_round_mode_32 0
		.amdhsa_float_round_mode_16_64 0
		.amdhsa_float_denorm_mode_32 3
		.amdhsa_float_denorm_mode_16_64 3
		.amdhsa_dx10_clamp 1
		.amdhsa_ieee_mode 1
		.amdhsa_fp16_overflow 0
		.amdhsa_workgroup_processor_mode 1
		.amdhsa_memory_ordered 1
		.amdhsa_forward_progress 1
		.amdhsa_shared_vgpr_count 0
		.amdhsa_exception_fp_ieee_invalid_op 0
		.amdhsa_exception_fp_denorm_src 0
		.amdhsa_exception_fp_ieee_div_zero 0
		.amdhsa_exception_fp_ieee_overflow 0
		.amdhsa_exception_fp_ieee_underflow 0
		.amdhsa_exception_fp_ieee_inexact 0
		.amdhsa_exception_int_div_zero 0
	.end_amdhsa_kernel
	.section	.text._ZL15flash_attn_tileILi576ELi512ELi2ELi16ELb1EEvPKcS1_S1_S1_S1_PKiPfP15HIP_vector_typeIfLj2EEffffjfiS5_IjLj3EEiiiiiiiiiiiliiliiiiil,"axG",@progbits,_ZL15flash_attn_tileILi576ELi512ELi2ELi16ELb1EEvPKcS1_S1_S1_S1_PKiPfP15HIP_vector_typeIfLj2EEffffjfiS5_IjLj3EEiiiiiiiiiiiliiliiiiil,comdat
.Lfunc_end23:
	.size	_ZL15flash_attn_tileILi576ELi512ELi2ELi16ELb1EEvPKcS1_S1_S1_S1_PKiPfP15HIP_vector_typeIfLj2EEffffjfiS5_IjLj3EEiiiiiiiiiiiliiliiiiil, .Lfunc_end23-_ZL15flash_attn_tileILi576ELi512ELi2ELi16ELb1EEvPKcS1_S1_S1_S1_PKiPfP15HIP_vector_typeIfLj2EEffffjfiS5_IjLj3EEiiiiiiiiiiiliiliiiiil
                                        ; -- End function
	.set _ZL15flash_attn_tileILi576ELi512ELi2ELi16ELb1EEvPKcS1_S1_S1_S1_PKiPfP15HIP_vector_typeIfLj2EEffffjfiS5_IjLj3EEiiiiiiiiiiiliiliiiiil.num_vgpr, 203
	.set _ZL15flash_attn_tileILi576ELi512ELi2ELi16ELb1EEvPKcS1_S1_S1_S1_PKiPfP15HIP_vector_typeIfLj2EEffffjfiS5_IjLj3EEiiiiiiiiiiiliiliiiiil.num_agpr, 0
	.set _ZL15flash_attn_tileILi576ELi512ELi2ELi16ELb1EEvPKcS1_S1_S1_S1_PKiPfP15HIP_vector_typeIfLj2EEffffjfiS5_IjLj3EEiiiiiiiiiiiliiliiiiil.numbered_sgpr, 41
	.set _ZL15flash_attn_tileILi576ELi512ELi2ELi16ELb1EEvPKcS1_S1_S1_S1_PKiPfP15HIP_vector_typeIfLj2EEffffjfiS5_IjLj3EEiiiiiiiiiiiliiliiiiil.num_named_barrier, 0
	.set _ZL15flash_attn_tileILi576ELi512ELi2ELi16ELb1EEvPKcS1_S1_S1_S1_PKiPfP15HIP_vector_typeIfLj2EEffffjfiS5_IjLj3EEiiiiiiiiiiiliiliiiiil.private_seg_size, 0
	.set _ZL15flash_attn_tileILi576ELi512ELi2ELi16ELb1EEvPKcS1_S1_S1_S1_PKiPfP15HIP_vector_typeIfLj2EEffffjfiS5_IjLj3EEiiiiiiiiiiiliiliiiiil.uses_vcc, 1
	.set _ZL15flash_attn_tileILi576ELi512ELi2ELi16ELb1EEvPKcS1_S1_S1_S1_PKiPfP15HIP_vector_typeIfLj2EEffffjfiS5_IjLj3EEiiiiiiiiiiiliiliiiiil.uses_flat_scratch, 0
	.set _ZL15flash_attn_tileILi576ELi512ELi2ELi16ELb1EEvPKcS1_S1_S1_S1_PKiPfP15HIP_vector_typeIfLj2EEffffjfiS5_IjLj3EEiiiiiiiiiiiliiliiiiil.has_dyn_sized_stack, 0
	.set _ZL15flash_attn_tileILi576ELi512ELi2ELi16ELb1EEvPKcS1_S1_S1_S1_PKiPfP15HIP_vector_typeIfLj2EEffffjfiS5_IjLj3EEiiiiiiiiiiiliiliiiiil.has_recursion, 0
	.set _ZL15flash_attn_tileILi576ELi512ELi2ELi16ELb1EEvPKcS1_S1_S1_S1_PKiPfP15HIP_vector_typeIfLj2EEffffjfiS5_IjLj3EEiiiiiiiiiiiliiliiiiil.has_indirect_call, 0
	.section	.AMDGPU.csdata,"",@progbits
; Kernel info:
; codeLenInByte = 89612
; TotalNumSgprs: 43
; NumVgprs: 203
; ScratchSize: 0
; MemoryBound: 0
; FloatMode: 240
; IeeeMode: 1
; LDSByteSize: 63488 bytes/workgroup (compile time only)
; SGPRBlocks: 0
; VGPRBlocks: 25
; NumSGPRsForWavesPerEU: 43
; NumVGPRsForWavesPerEU: 203
; Occupancy: 4
; WaveLimiterHint : 1
; COMPUTE_PGM_RSRC2:SCRATCH_EN: 0
; COMPUTE_PGM_RSRC2:USER_SGPR: 6
; COMPUTE_PGM_RSRC2:TRAP_HANDLER: 0
; COMPUTE_PGM_RSRC2:TGID_X_EN: 1
; COMPUTE_PGM_RSRC2:TGID_Y_EN: 1
; COMPUTE_PGM_RSRC2:TGID_Z_EN: 1
; COMPUTE_PGM_RSRC2:TIDIG_COMP_CNT: 1
	.section	.text._ZL15flash_attn_tileILi576ELi512ELi1ELi16ELb1EEvPKcS1_S1_S1_S1_PKiPfP15HIP_vector_typeIfLj2EEffffjfiS5_IjLj3EEiiiiiiiiiiiliiliiiiil,"axG",@progbits,_ZL15flash_attn_tileILi576ELi512ELi1ELi16ELb1EEvPKcS1_S1_S1_S1_PKiPfP15HIP_vector_typeIfLj2EEffffjfiS5_IjLj3EEiiiiiiiiiiiliiliiiiil,comdat
	.globl	_ZL15flash_attn_tileILi576ELi512ELi1ELi16ELb1EEvPKcS1_S1_S1_S1_PKiPfP15HIP_vector_typeIfLj2EEffffjfiS5_IjLj3EEiiiiiiiiiiiliiliiiiil ; -- Begin function _ZL15flash_attn_tileILi576ELi512ELi1ELi16ELb1EEvPKcS1_S1_S1_S1_PKiPfP15HIP_vector_typeIfLj2EEffffjfiS5_IjLj3EEiiiiiiiiiiiliiliiiiil
	.p2align	8
	.type	_ZL15flash_attn_tileILi576ELi512ELi1ELi16ELb1EEvPKcS1_S1_S1_S1_PKiPfP15HIP_vector_typeIfLj2EEffffjfiS5_IjLj3EEiiiiiiiiiiiliiliiiiil,@function
_ZL15flash_attn_tileILi576ELi512ELi1ELi16ELb1EEvPKcS1_S1_S1_S1_PKiPfP15HIP_vector_typeIfLj2EEffffjfiS5_IjLj3EEiiiiiiiiiiiliiliiiiil: ; @_ZL15flash_attn_tileILi576ELi512ELi1ELi16ELb1EEvPKcS1_S1_S1_S1_PKiPfP15HIP_vector_typeIfLj2EEffffjfiS5_IjLj3EEiiiiiiiiiiiliiliiiiil
; %bb.0:
	s_clause 0x1
	s_load_dwordx4 s[0:3], s[4:5], 0x5c
	s_load_dwordx2 s[30:31], s[4:5], 0x80
	s_mov_b32 s28, s7
	s_mov_b64 s[34:35], 0
	s_waitcnt lgkmcnt(0)
	s_ashr_i32 s7, s3, 31
	s_lshr_b32 s7, s7, 28
	s_add_i32 s7, s3, s7
	s_ashr_i32 s7, s7, 4
	v_cvt_f32_u32_e32 v2, s7
	s_sub_i32 s10, 0, s7
	v_rcp_iflag_f32_e32 v2, v2
	v_mul_f32_e32 v2, 0x4f7ffffe, v2
	v_cvt_u32_f32_e32 v2, v2
	v_readfirstlane_b32 s9, v2
	s_mul_i32 s10, s10, s9
	s_mul_hi_u32 s10, s9, s10
	s_add_i32 s9, s9, s10
	s_mul_hi_u32 s9, s8, s9
	s_mul_i32 s10, s9, s7
	s_add_i32 s11, s9, 1
	s_sub_i32 s10, s8, s10
	s_sub_i32 s12, s10, s7
	s_cmp_ge_u32 s10, s7
	s_cselect_b32 s9, s11, s9
	s_cselect_b32 s10, s12, s10
	s_add_i32 s11, s9, 1
	s_cmp_ge_u32 s10, s7
	s_cselect_b32 s29, s11, s9
	s_abs_i32 s7, s31
	s_lshl_b32 s8, s8, 4
	v_cvt_f32_u32_e32 v2, s7
	s_sub_i32 s10, 0, s7
	s_mul_i32 s11, s29, s3
	s_abs_i32 s12, s3
	s_sub_i32 s33, s8, s11
	v_rcp_iflag_f32_e32 v2, v2
	v_mul_f32_e32 v2, 0x4f7ffffe, v2
	v_cvt_u32_f32_e32 v2, v2
	v_readfirstlane_b32 s9, v2
	s_mul_i32 s10, s10, s9
	s_mul_hi_u32 s10, s9, s10
	s_add_i32 s9, s9, s10
	s_mul_hi_u32 s8, s12, s9
	s_xor_b32 s9, s3, s31
	s_mul_i32 s10, s8, s7
	s_ashr_i32 s9, s9, 31
	s_sub_i32 s10, s12, s10
	s_add_i32 s11, s8, 1
	s_sub_i32 s12, s10, s7
	s_cmp_ge_u32 s10, s7
	s_cselect_b32 s8, s11, s8
	s_cselect_b32 s10, s12, s10
	s_add_i32 s11, s8, 1
	s_cmp_ge_u32 s10, s7
	s_cselect_b32 s7, s11, s8
	s_xor_b32 s7, s7, s9
	s_sub_i32 s31, s7, s9
	s_clause 0x1
	s_load_dwordx16 s[8:23], s[4:5], 0x0
	s_load_dwordx2 s[36:37], s[4:5], 0xb8
	s_abs_i32 s7, s31
	v_cvt_f32_u32_e32 v2, s7
	v_rcp_iflag_f32_e32 v2, v2
	v_mul_f32_e32 v2, 0x4f7ffffe, v2
	s_waitcnt lgkmcnt(0)
	s_cmp_eq_u64 s[14:15], 0
	v_cvt_u32_f32_e32 v2, v2
	v_readfirstlane_b32 s38, v2
	s_cbranch_scc1 .LBB24_2
; %bb.1:
	s_abs_i32 s26, s36
	s_abs_i32 s27, s29
	v_cvt_f32_u32_e32 v2, s26
	s_sub_i32 s25, 0, s26
	v_rcp_iflag_f32_e32 v2, v2
	v_mul_f32_e32 v2, 0x4f7ffffe, v2
	v_cvt_u32_f32_e32 v2, v2
	v_readfirstlane_b32 s24, v2
	s_mul_i32 s25, s25, s24
	s_mul_hi_u32 s25, s24, s25
	s_add_i32 s24, s24, s25
	s_mul_hi_u32 s34, s27, s24
	s_load_dwordx2 s[24:25], s[4:5], 0xc8
	s_mul_i32 s34, s34, s26
	s_sub_i32 s27, s27, s34
	s_ashr_i32 s34, s29, 31
	s_sub_i32 s35, s27, s26
	s_cmp_ge_u32 s27, s26
	s_cselect_b32 s27, s35, s27
	s_sub_i32 s35, s27, s26
	s_cmp_ge_u32 s27, s26
	s_cselect_b32 s26, s35, s27
	s_xor_b32 s26, s26, s34
	s_sub_i32 s26, s26, s34
	s_ashr_i32 s27, s26, 31
	s_waitcnt lgkmcnt(0)
	s_mul_hi_u32 s34, s24, s26
	s_mul_i32 s27, s24, s27
	s_mul_i32 s25, s25, s26
	s_add_i32 s27, s34, s27
	s_mul_i32 s24, s24, s26
	s_add_i32 s27, s27, s25
	s_add_u32 s34, s14, s24
	s_addc_u32 s35, s15, s27
.LBB24_2:
	v_lshrrev_b32_e32 v2, 3, v1
	s_load_dwordx4 s[24:27], s[4:5], 0x70
	v_lshlrev_b32_e32 v6, 1, v1
	v_mul_u32_u24_e32 v93, 0x900, v1
	v_add_nc_u32_e32 v81, s6, v2
	v_and_b32_e32 v92, 14, v6
	v_mul_hi_u32 v2, s0, v81
	v_add_nc_u32_e32 v2, v81, v2
	s_waitcnt lgkmcnt(0)
	s_mul_i32 s14, s33, s25
	s_mov_b32 s0, s25
	v_lshrrev_b32_e32 v2, s1, v2
	s_mul_i32 s1, s29, s26
	s_ashr_i32 s15, s1, 31
	s_add_u32 s1, s8, s1
	v_mul_lo_u32 v2, v2, s2
	s_addc_u32 s8, s9, s15
	s_ashr_i32 s9, s14, 31
	s_add_u32 s14, s1, s14
	s_addc_u32 s15, s8, s9
	s_ashr_i32 s1, s25, 31
	s_ashr_i32 s25, s24, 31
	s_lshr_b64 s[8:9], s[24:25], 2
	v_sub_nc_u32_e32 v4, v81, v2
	v_mad_u64_u32 v[2:3], null, s8, v4, 0
	s_lshr_b64 s[8:9], s[0:1], 2
	s_lshr_b32 s0, s25, 2
	v_mad_u64_u32 v[7:8], null, s8, v92, 0
	v_mad_u64_u32 v[9:10], null, s0, v4, v[3:4]
	s_lshr_b32 s0, s1, 2
	s_load_dword s1, s[4:5], 0x40
	v_mov_b32_e32 v5, v8
	v_mov_b32_e32 v3, v9
	v_mad_u64_u32 v[8:9], null, s0, v92, v[5:6]
	v_lshlrev_b32_e32 v5, 4, v0
	v_lshlrev_b64 v[2:3], 2, v[2:3]
	v_add_co_u32 v9, vcc_lo, s14, v2
	v_add_co_ci_u32_e64 v10, null, s15, v3, vcc_lo
	v_lshlrev_b64 v[2:3], 2, v[7:8]
	v_add_co_u32 v7, vcc_lo, v9, v5
	v_add_co_ci_u32_e64 v8, null, 0, v10, vcc_lo
	v_lshlrev_b32_e32 v5, 3, v0
	v_add_co_u32 v2, vcc_lo, v7, v2
	v_add_co_ci_u32_e64 v3, null, v8, v3, vcc_lo
	v_mad_u32_u24 v25, 0x900, v1, v5
	v_cmp_gt_u32_e32 vcc_lo, 16, v0
	s_clause 0x3
	global_load_dwordx4 v[9:12], v[2:3], off
	global_load_dwordx4 v[13:16], v[2:3], off offset:512
	global_load_dwordx4 v[17:20], v[2:3], off offset:1024
	;; [unrolled: 1-line block ×3, first 2 shown]
	s_waitcnt vmcnt(3) lgkmcnt(0)
	v_fma_mixlo_f16 v9, s1, v9, 0
	v_fma_mixlo_f16 v10, s1, v10, 0
	;; [unrolled: 1-line block ×4, first 2 shown]
	s_waitcnt vmcnt(2)
	v_fma_mixlo_f16 v13, s1, v13, 0
	v_fma_mixlo_f16 v14, s1, v14, 0
	;; [unrolled: 1-line block ×4, first 2 shown]
	s_waitcnt vmcnt(1)
	v_fma_mixlo_f16 v17, s1, v17, 0
	v_fma_mixlo_f16 v18, s1, v18, 0
	s_waitcnt vmcnt(0)
	v_fma_mixlo_f16 v21, s1, v21, 0
	v_fma_mixlo_f16 v22, s1, v22, 0
	v_lshlrev_b32_e32 v10, 16, v10
	v_and_b32_e32 v9, 0xffff, v9
	v_lshlrev_b32_e32 v12, 16, v12
	v_and_b32_e32 v11, 0xffff, v11
	;; [unrolled: 2-line block ×3, first 2 shown]
	v_fma_mixlo_f16 v19, s1, v19, 0
	v_fma_mixlo_f16 v20, s1, v20, 0
	;; [unrolled: 1-line block ×4, first 2 shown]
	v_lshlrev_b32_e32 v16, 16, v16
	v_and_b32_e32 v15, 0xffff, v15
	v_lshlrev_b32_e32 v18, 16, v18
	v_and_b32_e32 v17, 0xffff, v17
	;; [unrolled: 2-line block ×3, first 2 shown]
	v_or_b32_e32 v9, v10, v9
	v_or3_b32 v10, v12, v11, 0
	v_or_b32_e32 v11, v14, v13
	v_lshlrev_b32_e32 v20, 16, v20
	v_and_b32_e32 v19, 0xffff, v19
	v_lshlrev_b32_e32 v24, 16, v24
	v_and_b32_e32 v23, 0xffff, v23
	v_or3_b32 v12, v16, v15, 0
	v_or_b32_e32 v13, v18, v17
	v_or_b32_e32 v15, v22, v21
	v_or3_b32 v9, 0, 0, v9
	v_or3_b32 v11, 0, 0, v11
	;; [unrolled: 1-line block ×6, first 2 shown]
	ds_write2_b64 v25, v[9:10], v[11:12] offset1:32
	ds_write2_b64 v25, v[13:14], v[15:16] offset0:64 offset1:96
	s_and_saveexec_b32 s14, vcc_lo
	s_cbranch_execz .LBB24_4
; %bb.3:
	v_add_co_u32 v2, s0, 0x800, v2
	v_add_co_ci_u32_e64 v3, null, 0, v3, s0
	global_load_dwordx4 v[9:12], v[2:3], off
	s_waitcnt vmcnt(0)
	v_fma_mixlo_f16 v2, s1, v10, 0
	v_fma_mixlo_f16 v3, s1, v9, 0
	;; [unrolled: 1-line block ×4, first 2 shown]
	v_lshlrev_b32_e32 v2, 16, v2
	v_and_b32_e32 v3, 0xffff, v3
	v_and_b32_e32 v9, 0xffff, v9
	v_lshlrev_b32_e32 v10, 16, v10
	v_or_b32_e32 v2, v2, v3
	v_or3_b32 v3, v10, v9, 0
	v_add_nc_u32_e32 v9, v5, v93
	v_or3_b32 v2, 0, 0, v2
	ds_write_b64 v9, v[2:3] offset:1024
.LBB24_4:
	s_or_b32 exec_lo, exec_lo, s14
	v_or_b32_e32 v6, 1, v6
	v_and_b32_e32 v9, 15, v6
	v_mad_u32_u24 v23, 0x480, v6, v5
	v_mad_u64_u32 v[2:3], null, s8, v9, 0
	v_mad_u64_u32 v[9:10], null, s9, v9, v[3:4]
	v_mov_b32_e32 v3, v9
	v_lshlrev_b64 v[2:3], 2, v[2:3]
	v_add_co_u32 v2, s0, v7, v2
	v_add_co_ci_u32_e64 v3, null, v8, v3, s0
	s_clause 0x3
	global_load_dwordx4 v[7:10], v[2:3], off
	global_load_dwordx4 v[11:14], v[2:3], off offset:512
	global_load_dwordx4 v[15:18], v[2:3], off offset:1024
	;; [unrolled: 1-line block ×3, first 2 shown]
	s_waitcnt vmcnt(3)
	v_fma_mixlo_f16 v7, s1, v7, 0
	v_fma_mixlo_f16 v8, s1, v8, 0
	;; [unrolled: 1-line block ×4, first 2 shown]
	s_waitcnt vmcnt(2)
	v_fma_mixlo_f16 v11, s1, v11, 0
	v_fma_mixlo_f16 v12, s1, v12, 0
	;; [unrolled: 1-line block ×4, first 2 shown]
	s_waitcnt vmcnt(1)
	v_fma_mixlo_f16 v15, s1, v15, 0
	v_fma_mixlo_f16 v16, s1, v16, 0
	s_waitcnt vmcnt(0)
	v_fma_mixlo_f16 v19, s1, v19, 0
	v_fma_mixlo_f16 v20, s1, v20, 0
	v_lshlrev_b32_e32 v8, 16, v8
	v_and_b32_e32 v7, 0xffff, v7
	v_lshlrev_b32_e32 v10, 16, v10
	v_and_b32_e32 v9, 0xffff, v9
	;; [unrolled: 2-line block ×3, first 2 shown]
	v_fma_mixlo_f16 v17, s1, v17, 0
	v_fma_mixlo_f16 v18, s1, v18, 0
	;; [unrolled: 1-line block ×4, first 2 shown]
	v_lshlrev_b32_e32 v14, 16, v14
	v_and_b32_e32 v13, 0xffff, v13
	v_lshlrev_b32_e32 v16, 16, v16
	v_and_b32_e32 v15, 0xffff, v15
	;; [unrolled: 2-line block ×3, first 2 shown]
	v_or_b32_e32 v7, v8, v7
	v_or3_b32 v8, v10, v9, 0
	v_or_b32_e32 v9, v12, v11
	v_lshlrev_b32_e32 v18, 16, v18
	v_and_b32_e32 v17, 0xffff, v17
	v_lshlrev_b32_e32 v22, 16, v22
	v_and_b32_e32 v21, 0xffff, v21
	v_or3_b32 v10, v14, v13, 0
	v_or_b32_e32 v11, v16, v15
	v_or_b32_e32 v13, v20, v19
	v_or3_b32 v7, 0, 0, v7
	v_or3_b32 v9, 0, 0, v9
	;; [unrolled: 1-line block ×6, first 2 shown]
	ds_write2_b64 v23, v[7:8], v[9:10] offset1:32
	ds_write2_b64 v23, v[11:12], v[13:14] offset0:64 offset1:96
	s_and_saveexec_b32 s0, vcc_lo
	s_cbranch_execz .LBB24_6
; %bb.5:
	v_add_co_u32 v2, vcc_lo, 0x800, v2
	v_add_co_ci_u32_e64 v3, null, 0, v3, vcc_lo
	v_mul_u32_u24_e32 v6, 0x480, v6
	global_load_dwordx4 v[7:10], v[2:3], off
	v_add_nc_u32_e32 v6, v5, v6
	s_waitcnt vmcnt(0)
	v_fma_mixlo_f16 v2, s1, v8, 0
	v_fma_mixlo_f16 v3, s1, v7, 0
	;; [unrolled: 1-line block ×4, first 2 shown]
	v_lshlrev_b32_e32 v2, 16, v2
	v_and_b32_e32 v3, 0xffff, v3
	v_and_b32_e32 v7, 0xffff, v7
	v_lshlrev_b32_e32 v8, 16, v8
	v_or_b32_e32 v2, v2, v3
	v_or3_b32 v3, v8, v7, 0
	v_or3_b32 v2, 0, 0, v2
	ds_write_b64 v6, v[2:3] offset:1024
.LBB24_6:
	s_or_b32 exec_lo, exec_lo, s0
	s_cmp_eq_u64 s[18:19], 0
	s_waitcnt lgkmcnt(0)
	s_barrier
	buffer_gl0_inv
	s_cbranch_scc1 .LBB24_8
; %bb.7:
	s_load_dword s0, s[4:5], 0xd0
	s_mov_b32 s1, 0
	s_waitcnt lgkmcnt(0)
	s_mul_i32 s0, s0, s29
	s_add_i32 s0, s0, s6
	s_lshl_b64 s[0:1], s[0:1], 2
	s_add_u32 s0, s18, s0
	s_addc_u32 s1, s19, s1
	s_load_dword s30, s[0:1], 0x0
.LBB24_8:
	v_lshlrev_b32_e32 v91, 2, v0
	v_mbcnt_lo_u32_b32 v94, -1, 0
	s_lshl_b32 s8, s28, 6
	s_waitcnt lgkmcnt(0)
	s_cmp_lt_i32 s8, s30
	s_cbranch_scc1 .LBB24_11
; %bb.9:
	v_mbcnt_lo_u32_b32 v2, -1, 0
	v_mov_b32_e32 v95, 32
	v_xor_b32_e32 v129, 16, v2
	v_xor_b32_e32 v125, 8, v2
	;; [unrolled: 1-line block ×5, first 2 shown]
	s_cbranch_execz .LBB24_12
; %bb.10:
	v_mov_b32_e32 v120, 0
	v_mov_b32_e32 v78, 0
	;; [unrolled: 1-line block ×20, first 2 shown]
	s_branch .LBB24_32
.LBB24_11:
                                        ; implicit-def: $vgpr2
                                        ; implicit-def: $vgpr95
                                        ; implicit-def: $vgpr129
                                        ; implicit-def: $vgpr125
                                        ; implicit-def: $vgpr126
                                        ; implicit-def: $vgpr127
                                        ; implicit-def: $vgpr128
.LBB24_12:
	s_clause 0x1
	s_load_dwordx4 s[24:27], s[4:5], 0x98
	s_load_dwordx2 s[0:1], s[4:5], 0x8c
	s_sub_i32 s6, 0, s7
	s_abs_i32 s15, s33
	s_mul_i32 s6, s6, s38
	s_ashr_i32 s36, s33, 31
	s_mul_hi_u32 s6, s38, s6
	s_ashr_i32 s31, s31, 31
	s_add_i32 s38, s38, s6
	s_ashr_i32 s37, s37, 1
	s_mul_hi_u32 s6, s15, s38
	s_ashr_i32 s38, s29, 31
	s_load_dwordx2 s[18:19], s[4:5], 0xa8
	s_mul_i32 s39, s6, s7
	v_lshrrev_b32_e32 v2, 3, v0
	v_and_b32_e32 v10, 28, v91
	v_lshlrev_b32_e32 v11, 2, v91
	v_mad_u64_u32 v[82:83], null, v4, s37, v[0:1]
	v_lshl_add_u32 v3, v1, 2, v2
	s_waitcnt lgkmcnt(0)
	s_ashr_i32 s9, s26, 2
	s_ashr_i32 s14, s0, 2
	s_mul_hi_u32 s0, s24, s29
	s_mul_i32 s26, s24, s38
	s_mul_i32 s25, s25, s29
	s_add_i32 s0, s0, s26
	s_mul_i32 s24, s24, s29
	s_add_i32 s0, s0, s25
	s_add_u32 s24, s10, s24
	s_addc_u32 s0, s11, s0
	s_sub_i32 s15, s15, s39
	s_xor_b32 s11, s36, s31
	s_add_i32 s25, s6, 1
	s_sub_i32 s26, s15, s7
	s_cmp_ge_u32 s15, s7
	v_lshlrev_b32_e32 v6, 2, v10
	s_cselect_b32 s6, s25, s6
	s_cselect_b32 s15, s26, s15
	s_add_i32 s25, s6, 1
	s_cmp_ge_u32 s15, s7
	v_mad_u32_u24 v9, 0x90, v3, v6
	v_mul_lo_u32 v6, s9, v1
	s_cselect_b32 s6, s25, s6
	v_mul_lo_u32 v2, s14, v3
	s_xor_b32 s6, s6, s11
	s_load_dword s10, s[4:5], 0x54
	s_sub_i32 s6, s6, s11
	s_mul_hi_u32 s7, s18, s29
	s_mul_i32 s1, s6, s1
	v_ashrrev_i32_e32 v7, 31, v6
	s_mul_i32 s25, s18, s38
	s_ashr_i32 s15, s1, 31
	s_add_u32 s11, s24, s1
	s_mul_i32 s19, s19, s29
	s_addc_u32 s15, s0, s15
	s_add_i32 s0, s7, s25
	s_mul_i32 s1, s18, s29
	v_lshlrev_b64 v[6:7], 2, v[6:7]
	s_add_i32 s0, s0, s19
	s_mul_i32 s6, s6, s27
	s_add_u32 s1, s12, s1
	v_lshl_add_u32 v8, s14, 5, v2
	s_addc_u32 s0, s13, s0
	s_ashr_i32 s7, s6, 31
	s_add_u32 s1, s1, s6
	s_addc_u32 s0, s0, s7
	v_lshl_add_u32 v12, v1, 10, v11
	v_lshl_add_u32 v99, v1, 8, 0x6c00
	v_add_co_u32 v1, vcc_lo, s1, v6
	v_add_nc_u32_e32 v96, 0x4800, v9
	v_ashrrev_i32_e32 v3, 31, v2
	v_add_nc_u32_e32 v97, 0x5a00, v9
	v_ashrrev_i32_e32 v9, 31, v8
	v_add_co_ci_u32_e64 v4, null, s0, v7, vcc_lo
	s_movk_i32 s6, 0x4800
	v_add_co_u32 v103, vcc_lo, v1, v11
	v_lshlrev_b64 v[83:84], 2, v[2:3]
	v_lshlrev_b64 v[85:86], 2, v[8:9]
	v_mov_b32_e32 v109, 0
	v_mad_u32_u24 v98, 0x90, v0, s6
	v_add_nc_u32_e32 v100, 0x4800, v12
	v_add_nc_u32_e32 v101, 0x4a00, v12
	v_or_b32_e32 v102, 0x4800, v5
	v_add_co_ci_u32_e64 v104, null, 0, v4, vcc_lo
	v_mov_b32_e32 v89, 0xfeffffff
	v_lshlrev_b32_e32 v105, 2, v10
	v_mov_b32_e32 v95, 32
	v_mov_b32_e32 v106, 0x10001
	;; [unrolled: 1-line block ×20, first 2 shown]
	s_add_u32 s0, s4, 0xd0
	s_addc_u32 s1, s5, 0
	s_mov_b32 s12, 0xbbbac73d
.LBB24_13:                              ; =>This Inner Loop Header: Depth=1
	s_mul_hi_i32 s7, s8, s14
	s_mul_i32 s6, s8, s14
	s_lshl_b64 s[6:7], s[6:7], 2
	s_add_u32 s6, s11, s6
	s_addc_u32 s7, s15, s7
	v_add_co_u32 v1, vcc_lo, s6, v83
	v_add_co_ci_u32_e64 v2, null, s7, v84, vcc_lo
	v_add_co_u32 v3, vcc_lo, s6, v85
	v_add_co_ci_u32_e64 v4, null, s7, v86, vcc_lo
	;; [unrolled: 2-line block ×4, first 2 shown]
	s_clause 0x1
	global_load_dwordx4 v[5:8], v[1:2], off
	global_load_dwordx4 v[9:12], v[3:4], off
	s_waitcnt vmcnt(1)
	ds_write_b128 v96, v[5:8]
	s_waitcnt vmcnt(0)
	ds_write_b128 v97, v[9:12]
	s_waitcnt lgkmcnt(0)
	s_barrier
	buffer_gl0_inv
	ds_read_b128 v[9:12], v98
	ds_read_b128 v[13:16], v93
	ds_read_b128 v[17:20], v93 offset:1152
	ds_read_b128 v[21:24], v98 offset:4608
	v_mov_b32_e32 v7, 0
	v_mov_b32_e32 v5, 0
	;; [unrolled: 1-line block ×4, first 2 shown]
	s_waitcnt lgkmcnt(2)
	;;#ASMSTART
	v_dot2_f32_f16 v7, v9, v13, v7
	;;#ASMEND
	;;#ASMSTART
	v_dot2_f32_f16 v7, v10, v14, v7
	;;#ASMEND
	;;#ASMSTART
	v_dot2_f32_f16 v7, v11, v15, v7
	;;#ASMEND
	;;#ASMSTART
	v_dot2_f32_f16 v7, v12, v16, v7
	;;#ASMEND
	s_waitcnt lgkmcnt(1)
	;;#ASMSTART
	v_dot2_f32_f16 v5, v9, v17, v5
	;;#ASMEND
	;;#ASMSTART
	v_dot2_f32_f16 v5, v10, v18, v5
	;;#ASMEND
	;;#ASMSTART
	v_dot2_f32_f16 v5, v11, v19, v5
	;;#ASMEND
	;;#ASMSTART
	v_dot2_f32_f16 v5, v12, v20, v5
	;;#ASMEND
	s_waitcnt lgkmcnt(0)
	;;#ASMSTART
	v_dot2_f32_f16 v8, v21, v13, v8
	;;#ASMEND
	;;#ASMSTART
	v_dot2_f32_f16 v8, v22, v14, v8
	;;#ASMEND
	;;#ASMSTART
	v_dot2_f32_f16 v8, v23, v15, v8
	;;#ASMEND
	;;#ASMSTART
	v_dot2_f32_f16 v8, v24, v16, v8
	;;#ASMEND
	;;#ASMSTART
	v_dot2_f32_f16 v6, v21, v17, v6
	;;#ASMEND
	;;#ASMSTART
	v_dot2_f32_f16 v6, v22, v18, v6
	;;#ASMEND
	;;#ASMSTART
	v_dot2_f32_f16 v6, v23, v19, v6
	;;#ASMEND
	;;#ASMSTART
	v_dot2_f32_f16 v6, v24, v20, v6
	;;#ASMEND
	ds_read_b128 v[9:12], v98 offset:16
	ds_read_b128 v[13:16], v93 offset:16
	ds_read_b128 v[17:20], v93 offset:1168
	ds_read_b128 v[21:24], v98 offset:4624
	s_waitcnt lgkmcnt(2)
	;;#ASMSTART
	v_dot2_f32_f16 v7, v9, v13, v7
	;;#ASMEND
	;;#ASMSTART
	v_dot2_f32_f16 v7, v10, v14, v7
	;;#ASMEND
	;;#ASMSTART
	v_dot2_f32_f16 v7, v11, v15, v7
	;;#ASMEND
	;;#ASMSTART
	v_dot2_f32_f16 v7, v12, v16, v7
	;;#ASMEND
	s_waitcnt lgkmcnt(1)
	;;#ASMSTART
	v_dot2_f32_f16 v5, v9, v17, v5
	;;#ASMEND
	;;#ASMSTART
	v_dot2_f32_f16 v5, v10, v18, v5
	;;#ASMEND
	;;#ASMSTART
	v_dot2_f32_f16 v5, v11, v19, v5
	;;#ASMEND
	;;#ASMSTART
	v_dot2_f32_f16 v5, v12, v20, v5
	;;#ASMEND
	s_waitcnt lgkmcnt(0)
	;;#ASMSTART
	v_dot2_f32_f16 v8, v21, v13, v8
	;;#ASMEND
	;;#ASMSTART
	v_dot2_f32_f16 v8, v22, v14, v8
	;;#ASMEND
	;;#ASMSTART
	v_dot2_f32_f16 v8, v23, v15, v8
	;;#ASMEND
	;;#ASMSTART
	v_dot2_f32_f16 v8, v24, v16, v8
	;;#ASMEND
	;;#ASMSTART
	v_dot2_f32_f16 v6, v21, v17, v6
	;;#ASMEND
	;;#ASMSTART
	v_dot2_f32_f16 v6, v22, v18, v6
	;;#ASMEND
	;;#ASMSTART
	v_dot2_f32_f16 v6, v23, v19, v6
	;;#ASMEND
	;;#ASMSTART
	v_dot2_f32_f16 v6, v24, v20, v6
	;;#ASMEND
	ds_read_b128 v[9:12], v98 offset:32
	ds_read_b128 v[13:16], v93 offset:32
	ds_read_b128 v[17:20], v93 offset:1184
	ds_read_b128 v[21:24], v98 offset:4640
	;; [unrolled: 55-line block ×7, first 2 shown]
	s_waitcnt lgkmcnt(2)
	;;#ASMSTART
	v_dot2_f32_f16 v7, v9, v13, v7
	;;#ASMEND
	;;#ASMSTART
	v_dot2_f32_f16 v7, v10, v14, v7
	;;#ASMEND
	;;#ASMSTART
	v_dot2_f32_f16 v7, v11, v15, v7
	;;#ASMEND
	;;#ASMSTART
	v_dot2_f32_f16 v7, v12, v16, v7
	;;#ASMEND
	s_waitcnt lgkmcnt(1)
	;;#ASMSTART
	v_dot2_f32_f16 v5, v9, v17, v5
	;;#ASMEND
	;;#ASMSTART
	v_dot2_f32_f16 v5, v10, v18, v5
	;;#ASMEND
	;;#ASMSTART
	v_dot2_f32_f16 v5, v11, v19, v5
	;;#ASMEND
	;;#ASMSTART
	v_dot2_f32_f16 v5, v12, v20, v5
	;;#ASMEND
	s_waitcnt lgkmcnt(0)
	;;#ASMSTART
	v_dot2_f32_f16 v8, v21, v13, v8
	;;#ASMEND
	;;#ASMSTART
	v_dot2_f32_f16 v8, v22, v14, v8
	;;#ASMEND
	;;#ASMSTART
	v_dot2_f32_f16 v8, v23, v15, v8
	;;#ASMEND
	;;#ASMSTART
	v_dot2_f32_f16 v8, v24, v16, v8
	;;#ASMEND
	;;#ASMSTART
	v_dot2_f32_f16 v6, v21, v17, v6
	;;#ASMEND
	;;#ASMSTART
	v_dot2_f32_f16 v6, v22, v18, v6
	;;#ASMEND
	;; [unrolled: 3-line block ×4, first 2 shown]
	s_barrier
	buffer_gl0_inv
	s_clause 0x1
	global_load_dwordx4 v[9:12], v[1:2], off offset:128
	global_load_dwordx4 v[13:16], v[3:4], off offset:128
	s_waitcnt vmcnt(1)
	ds_write_b128 v96, v[9:12]
	s_waitcnt vmcnt(0)
	ds_write_b128 v97, v[13:16]
	s_waitcnt lgkmcnt(0)
	s_barrier
	buffer_gl0_inv
	ds_read_b128 v[9:12], v98
	ds_read_b128 v[13:16], v93 offset:128
	ds_read_b128 v[17:20], v93 offset:1280
	ds_read_b128 v[21:24], v98 offset:4608
	s_waitcnt lgkmcnt(2)
	;;#ASMSTART
	v_dot2_f32_f16 v7, v9, v13, v7
	;;#ASMEND
	;;#ASMSTART
	v_dot2_f32_f16 v7, v10, v14, v7
	;;#ASMEND
	;;#ASMSTART
	v_dot2_f32_f16 v7, v11, v15, v7
	;;#ASMEND
	;;#ASMSTART
	v_dot2_f32_f16 v7, v12, v16, v7
	;;#ASMEND
	s_waitcnt lgkmcnt(1)
	;;#ASMSTART
	v_dot2_f32_f16 v5, v9, v17, v5
	;;#ASMEND
	;;#ASMSTART
	v_dot2_f32_f16 v5, v10, v18, v5
	;;#ASMEND
	;;#ASMSTART
	v_dot2_f32_f16 v5, v11, v19, v5
	;;#ASMEND
	;;#ASMSTART
	v_dot2_f32_f16 v5, v12, v20, v5
	;;#ASMEND
	s_waitcnt lgkmcnt(0)
	;;#ASMSTART
	v_dot2_f32_f16 v8, v21, v13, v8
	;;#ASMEND
	;;#ASMSTART
	v_dot2_f32_f16 v8, v22, v14, v8
	;;#ASMEND
	;;#ASMSTART
	v_dot2_f32_f16 v8, v23, v15, v8
	;;#ASMEND
	;;#ASMSTART
	v_dot2_f32_f16 v8, v24, v16, v8
	;;#ASMEND
	;;#ASMSTART
	v_dot2_f32_f16 v6, v21, v17, v6
	;;#ASMEND
	;;#ASMSTART
	v_dot2_f32_f16 v6, v22, v18, v6
	;;#ASMEND
	;;#ASMSTART
	v_dot2_f32_f16 v6, v23, v19, v6
	;;#ASMEND
	;;#ASMSTART
	v_dot2_f32_f16 v6, v24, v20, v6
	;;#ASMEND
	ds_read_b128 v[9:12], v98 offset:16
	ds_read_b128 v[13:16], v93 offset:144
	ds_read_b128 v[17:20], v93 offset:1296
	ds_read_b128 v[21:24], v98 offset:4624
	s_waitcnt lgkmcnt(2)
	;;#ASMSTART
	v_dot2_f32_f16 v7, v9, v13, v7
	;;#ASMEND
	;;#ASMSTART
	v_dot2_f32_f16 v7, v10, v14, v7
	;;#ASMEND
	;;#ASMSTART
	v_dot2_f32_f16 v7, v11, v15, v7
	;;#ASMEND
	;;#ASMSTART
	v_dot2_f32_f16 v7, v12, v16, v7
	;;#ASMEND
	s_waitcnt lgkmcnt(1)
	;;#ASMSTART
	v_dot2_f32_f16 v5, v9, v17, v5
	;;#ASMEND
	;;#ASMSTART
	v_dot2_f32_f16 v5, v10, v18, v5
	;;#ASMEND
	;;#ASMSTART
	v_dot2_f32_f16 v5, v11, v19, v5
	;;#ASMEND
	;;#ASMSTART
	v_dot2_f32_f16 v5, v12, v20, v5
	;;#ASMEND
	s_waitcnt lgkmcnt(0)
	;;#ASMSTART
	v_dot2_f32_f16 v8, v21, v13, v8
	;;#ASMEND
	;;#ASMSTART
	v_dot2_f32_f16 v8, v22, v14, v8
	;;#ASMEND
	;;#ASMSTART
	v_dot2_f32_f16 v8, v23, v15, v8
	;;#ASMEND
	;;#ASMSTART
	v_dot2_f32_f16 v8, v24, v16, v8
	;;#ASMEND
	;;#ASMSTART
	v_dot2_f32_f16 v6, v21, v17, v6
	;;#ASMEND
	;;#ASMSTART
	v_dot2_f32_f16 v6, v22, v18, v6
	;;#ASMEND
	;;#ASMSTART
	v_dot2_f32_f16 v6, v23, v19, v6
	;;#ASMEND
	;;#ASMSTART
	v_dot2_f32_f16 v6, v24, v20, v6
	;;#ASMEND
	ds_read_b128 v[9:12], v98 offset:32
	;; [unrolled: 55-line block ×7, first 2 shown]
	ds_read_b128 v[13:16], v93 offset:240
	ds_read_b128 v[17:20], v93 offset:1392
	;; [unrolled: 1-line block ×3, first 2 shown]
	s_waitcnt lgkmcnt(2)
	;;#ASMSTART
	v_dot2_f32_f16 v7, v9, v13, v7
	;;#ASMEND
	;;#ASMSTART
	v_dot2_f32_f16 v7, v10, v14, v7
	;;#ASMEND
	;;#ASMSTART
	v_dot2_f32_f16 v7, v11, v15, v7
	;;#ASMEND
	;;#ASMSTART
	v_dot2_f32_f16 v7, v12, v16, v7
	;;#ASMEND
	s_waitcnt lgkmcnt(1)
	;;#ASMSTART
	v_dot2_f32_f16 v5, v9, v17, v5
	;;#ASMEND
	;;#ASMSTART
	v_dot2_f32_f16 v5, v10, v18, v5
	;;#ASMEND
	;;#ASMSTART
	v_dot2_f32_f16 v5, v11, v19, v5
	;;#ASMEND
	;;#ASMSTART
	v_dot2_f32_f16 v5, v12, v20, v5
	;;#ASMEND
	;; [unrolled: 13-line block ×3, first 2 shown]
	;;#ASMSTART
	v_dot2_f32_f16 v6, v21, v17, v6
	;;#ASMEND
	;;#ASMSTART
	v_dot2_f32_f16 v6, v22, v18, v6
	;;#ASMEND
	;; [unrolled: 3-line block ×4, first 2 shown]
	s_barrier
	buffer_gl0_inv
	s_clause 0x1
	global_load_dwordx4 v[9:12], v[1:2], off offset:256
	global_load_dwordx4 v[13:16], v[3:4], off offset:256
	s_waitcnt vmcnt(1)
	ds_write_b128 v96, v[9:12]
	s_waitcnt vmcnt(0)
	ds_write_b128 v97, v[13:16]
	s_waitcnt lgkmcnt(0)
	s_barrier
	buffer_gl0_inv
	ds_read_b128 v[9:12], v98
	ds_read_b128 v[13:16], v93 offset:256
	ds_read_b128 v[17:20], v93 offset:1408
	ds_read_b128 v[21:24], v98 offset:4608
	s_waitcnt lgkmcnt(2)
	;;#ASMSTART
	v_dot2_f32_f16 v7, v9, v13, v7
	;;#ASMEND
	;;#ASMSTART
	v_dot2_f32_f16 v7, v10, v14, v7
	;;#ASMEND
	;;#ASMSTART
	v_dot2_f32_f16 v7, v11, v15, v7
	;;#ASMEND
	;;#ASMSTART
	v_dot2_f32_f16 v7, v12, v16, v7
	;;#ASMEND
	s_waitcnt lgkmcnt(1)
	;;#ASMSTART
	v_dot2_f32_f16 v5, v9, v17, v5
	;;#ASMEND
	;;#ASMSTART
	v_dot2_f32_f16 v5, v10, v18, v5
	;;#ASMEND
	;;#ASMSTART
	v_dot2_f32_f16 v5, v11, v19, v5
	;;#ASMEND
	;;#ASMSTART
	v_dot2_f32_f16 v5, v12, v20, v5
	;;#ASMEND
	s_waitcnt lgkmcnt(0)
	;;#ASMSTART
	v_dot2_f32_f16 v8, v21, v13, v8
	;;#ASMEND
	;;#ASMSTART
	v_dot2_f32_f16 v8, v22, v14, v8
	;;#ASMEND
	;;#ASMSTART
	v_dot2_f32_f16 v8, v23, v15, v8
	;;#ASMEND
	;;#ASMSTART
	v_dot2_f32_f16 v8, v24, v16, v8
	;;#ASMEND
	;;#ASMSTART
	v_dot2_f32_f16 v6, v21, v17, v6
	;;#ASMEND
	;;#ASMSTART
	v_dot2_f32_f16 v6, v22, v18, v6
	;;#ASMEND
	;;#ASMSTART
	v_dot2_f32_f16 v6, v23, v19, v6
	;;#ASMEND
	;;#ASMSTART
	v_dot2_f32_f16 v6, v24, v20, v6
	;;#ASMEND
	ds_read_b128 v[9:12], v98 offset:16
	ds_read_b128 v[13:16], v93 offset:272
	ds_read_b128 v[17:20], v93 offset:1424
	ds_read_b128 v[21:24], v98 offset:4624
	s_waitcnt lgkmcnt(2)
	;;#ASMSTART
	v_dot2_f32_f16 v7, v9, v13, v7
	;;#ASMEND
	;;#ASMSTART
	v_dot2_f32_f16 v7, v10, v14, v7
	;;#ASMEND
	;;#ASMSTART
	v_dot2_f32_f16 v7, v11, v15, v7
	;;#ASMEND
	;;#ASMSTART
	v_dot2_f32_f16 v7, v12, v16, v7
	;;#ASMEND
	s_waitcnt lgkmcnt(1)
	;;#ASMSTART
	v_dot2_f32_f16 v5, v9, v17, v5
	;;#ASMEND
	;;#ASMSTART
	v_dot2_f32_f16 v5, v10, v18, v5
	;;#ASMEND
	;;#ASMSTART
	v_dot2_f32_f16 v5, v11, v19, v5
	;;#ASMEND
	;;#ASMSTART
	v_dot2_f32_f16 v5, v12, v20, v5
	;;#ASMEND
	s_waitcnt lgkmcnt(0)
	;;#ASMSTART
	v_dot2_f32_f16 v8, v21, v13, v8
	;;#ASMEND
	;;#ASMSTART
	v_dot2_f32_f16 v8, v22, v14, v8
	;;#ASMEND
	;;#ASMSTART
	v_dot2_f32_f16 v8, v23, v15, v8
	;;#ASMEND
	;;#ASMSTART
	v_dot2_f32_f16 v8, v24, v16, v8
	;;#ASMEND
	;;#ASMSTART
	v_dot2_f32_f16 v6, v21, v17, v6
	;;#ASMEND
	;;#ASMSTART
	v_dot2_f32_f16 v6, v22, v18, v6
	;;#ASMEND
	;;#ASMSTART
	v_dot2_f32_f16 v6, v23, v19, v6
	;;#ASMEND
	;;#ASMSTART
	v_dot2_f32_f16 v6, v24, v20, v6
	;;#ASMEND
	ds_read_b128 v[9:12], v98 offset:32
	;; [unrolled: 55-line block ×7, first 2 shown]
	ds_read_b128 v[13:16], v93 offset:368
	ds_read_b128 v[17:20], v93 offset:1520
	;; [unrolled: 1-line block ×3, first 2 shown]
	s_waitcnt lgkmcnt(2)
	;;#ASMSTART
	v_dot2_f32_f16 v7, v9, v13, v7
	;;#ASMEND
	;;#ASMSTART
	v_dot2_f32_f16 v7, v10, v14, v7
	;;#ASMEND
	;;#ASMSTART
	v_dot2_f32_f16 v7, v11, v15, v7
	;;#ASMEND
	;;#ASMSTART
	v_dot2_f32_f16 v7, v12, v16, v7
	;;#ASMEND
	s_waitcnt lgkmcnt(1)
	;;#ASMSTART
	v_dot2_f32_f16 v5, v9, v17, v5
	;;#ASMEND
	;;#ASMSTART
	v_dot2_f32_f16 v5, v10, v18, v5
	;;#ASMEND
	;;#ASMSTART
	v_dot2_f32_f16 v5, v11, v19, v5
	;;#ASMEND
	;;#ASMSTART
	v_dot2_f32_f16 v5, v12, v20, v5
	;;#ASMEND
	;; [unrolled: 13-line block ×3, first 2 shown]
	;;#ASMSTART
	v_dot2_f32_f16 v6, v21, v17, v6
	;;#ASMEND
	;;#ASMSTART
	v_dot2_f32_f16 v6, v22, v18, v6
	;;#ASMEND
	;; [unrolled: 3-line block ×4, first 2 shown]
	s_barrier
	buffer_gl0_inv
	s_clause 0x1
	global_load_dwordx4 v[9:12], v[1:2], off offset:384
	global_load_dwordx4 v[13:16], v[3:4], off offset:384
	s_waitcnt vmcnt(1)
	ds_write_b128 v96, v[9:12]
	s_waitcnt vmcnt(0)
	ds_write_b128 v97, v[13:16]
	s_waitcnt lgkmcnt(0)
	s_barrier
	buffer_gl0_inv
	ds_read_b128 v[9:12], v98
	ds_read_b128 v[13:16], v93 offset:384
	ds_read_b128 v[17:20], v93 offset:1536
	ds_read_b128 v[21:24], v98 offset:4608
	s_waitcnt lgkmcnt(2)
	;;#ASMSTART
	v_dot2_f32_f16 v7, v9, v13, v7
	;;#ASMEND
	;;#ASMSTART
	v_dot2_f32_f16 v7, v10, v14, v7
	;;#ASMEND
	;;#ASMSTART
	v_dot2_f32_f16 v7, v11, v15, v7
	;;#ASMEND
	;;#ASMSTART
	v_dot2_f32_f16 v7, v12, v16, v7
	;;#ASMEND
	s_waitcnt lgkmcnt(1)
	;;#ASMSTART
	v_dot2_f32_f16 v5, v9, v17, v5
	;;#ASMEND
	;;#ASMSTART
	v_dot2_f32_f16 v5, v10, v18, v5
	;;#ASMEND
	;;#ASMSTART
	v_dot2_f32_f16 v5, v11, v19, v5
	;;#ASMEND
	;;#ASMSTART
	v_dot2_f32_f16 v5, v12, v20, v5
	;;#ASMEND
	s_waitcnt lgkmcnt(0)
	;;#ASMSTART
	v_dot2_f32_f16 v8, v21, v13, v8
	;;#ASMEND
	;;#ASMSTART
	v_dot2_f32_f16 v8, v22, v14, v8
	;;#ASMEND
	;;#ASMSTART
	v_dot2_f32_f16 v8, v23, v15, v8
	;;#ASMEND
	;;#ASMSTART
	v_dot2_f32_f16 v8, v24, v16, v8
	;;#ASMEND
	;;#ASMSTART
	v_dot2_f32_f16 v6, v21, v17, v6
	;;#ASMEND
	;;#ASMSTART
	v_dot2_f32_f16 v6, v22, v18, v6
	;;#ASMEND
	;;#ASMSTART
	v_dot2_f32_f16 v6, v23, v19, v6
	;;#ASMEND
	;;#ASMSTART
	v_dot2_f32_f16 v6, v24, v20, v6
	;;#ASMEND
	ds_read_b128 v[9:12], v98 offset:16
	ds_read_b128 v[13:16], v93 offset:400
	ds_read_b128 v[17:20], v93 offset:1552
	ds_read_b128 v[21:24], v98 offset:4624
	s_waitcnt lgkmcnt(2)
	;;#ASMSTART
	v_dot2_f32_f16 v7, v9, v13, v7
	;;#ASMEND
	;;#ASMSTART
	v_dot2_f32_f16 v7, v10, v14, v7
	;;#ASMEND
	;;#ASMSTART
	v_dot2_f32_f16 v7, v11, v15, v7
	;;#ASMEND
	;;#ASMSTART
	v_dot2_f32_f16 v7, v12, v16, v7
	;;#ASMEND
	s_waitcnt lgkmcnt(1)
	;;#ASMSTART
	v_dot2_f32_f16 v5, v9, v17, v5
	;;#ASMEND
	;;#ASMSTART
	v_dot2_f32_f16 v5, v10, v18, v5
	;;#ASMEND
	;;#ASMSTART
	v_dot2_f32_f16 v5, v11, v19, v5
	;;#ASMEND
	;;#ASMSTART
	v_dot2_f32_f16 v5, v12, v20, v5
	;;#ASMEND
	s_waitcnt lgkmcnt(0)
	;;#ASMSTART
	v_dot2_f32_f16 v8, v21, v13, v8
	;;#ASMEND
	;;#ASMSTART
	v_dot2_f32_f16 v8, v22, v14, v8
	;;#ASMEND
	;;#ASMSTART
	v_dot2_f32_f16 v8, v23, v15, v8
	;;#ASMEND
	;;#ASMSTART
	v_dot2_f32_f16 v8, v24, v16, v8
	;;#ASMEND
	;;#ASMSTART
	v_dot2_f32_f16 v6, v21, v17, v6
	;;#ASMEND
	;;#ASMSTART
	v_dot2_f32_f16 v6, v22, v18, v6
	;;#ASMEND
	;;#ASMSTART
	v_dot2_f32_f16 v6, v23, v19, v6
	;;#ASMEND
	;;#ASMSTART
	v_dot2_f32_f16 v6, v24, v20, v6
	;;#ASMEND
	ds_read_b128 v[9:12], v98 offset:32
	;; [unrolled: 55-line block ×7, first 2 shown]
	ds_read_b128 v[13:16], v93 offset:496
	ds_read_b128 v[17:20], v93 offset:1648
	;; [unrolled: 1-line block ×3, first 2 shown]
	s_waitcnt lgkmcnt(2)
	;;#ASMSTART
	v_dot2_f32_f16 v7, v9, v13, v7
	;;#ASMEND
	;;#ASMSTART
	v_dot2_f32_f16 v7, v10, v14, v7
	;;#ASMEND
	;;#ASMSTART
	v_dot2_f32_f16 v7, v11, v15, v7
	;;#ASMEND
	;;#ASMSTART
	v_dot2_f32_f16 v7, v12, v16, v7
	;;#ASMEND
	s_waitcnt lgkmcnt(1)
	;;#ASMSTART
	v_dot2_f32_f16 v5, v9, v17, v5
	;;#ASMEND
	;;#ASMSTART
	v_dot2_f32_f16 v5, v10, v18, v5
	;;#ASMEND
	;;#ASMSTART
	v_dot2_f32_f16 v5, v11, v19, v5
	;;#ASMEND
	;;#ASMSTART
	v_dot2_f32_f16 v5, v12, v20, v5
	;;#ASMEND
	;; [unrolled: 13-line block ×3, first 2 shown]
	;;#ASMSTART
	v_dot2_f32_f16 v6, v21, v17, v6
	;;#ASMEND
	;;#ASMSTART
	v_dot2_f32_f16 v6, v22, v18, v6
	;;#ASMEND
	;; [unrolled: 3-line block ×4, first 2 shown]
	s_barrier
	buffer_gl0_inv
	s_clause 0x1
	global_load_dwordx4 v[9:12], v[1:2], off offset:512
	global_load_dwordx4 v[13:16], v[3:4], off offset:512
	s_waitcnt vmcnt(1)
	ds_write_b128 v96, v[9:12]
	s_waitcnt vmcnt(0)
	ds_write_b128 v97, v[13:16]
	s_waitcnt lgkmcnt(0)
	s_barrier
	buffer_gl0_inv
	ds_read_b128 v[9:12], v98
	ds_read_b128 v[13:16], v93 offset:512
	ds_read_b128 v[17:20], v93 offset:1664
	ds_read_b128 v[21:24], v98 offset:4608
	s_waitcnt lgkmcnt(2)
	;;#ASMSTART
	v_dot2_f32_f16 v7, v9, v13, v7
	;;#ASMEND
	;;#ASMSTART
	v_dot2_f32_f16 v7, v10, v14, v7
	;;#ASMEND
	;;#ASMSTART
	v_dot2_f32_f16 v7, v11, v15, v7
	;;#ASMEND
	;;#ASMSTART
	v_dot2_f32_f16 v7, v12, v16, v7
	;;#ASMEND
	s_waitcnt lgkmcnt(1)
	;;#ASMSTART
	v_dot2_f32_f16 v5, v9, v17, v5
	;;#ASMEND
	;;#ASMSTART
	v_dot2_f32_f16 v5, v10, v18, v5
	;;#ASMEND
	;;#ASMSTART
	v_dot2_f32_f16 v5, v11, v19, v5
	;;#ASMEND
	;;#ASMSTART
	v_dot2_f32_f16 v5, v12, v20, v5
	;;#ASMEND
	s_waitcnt lgkmcnt(0)
	;;#ASMSTART
	v_dot2_f32_f16 v8, v21, v13, v8
	;;#ASMEND
	;;#ASMSTART
	v_dot2_f32_f16 v8, v22, v14, v8
	;;#ASMEND
	;;#ASMSTART
	v_dot2_f32_f16 v8, v23, v15, v8
	;;#ASMEND
	;;#ASMSTART
	v_dot2_f32_f16 v8, v24, v16, v8
	;;#ASMEND
	;;#ASMSTART
	v_dot2_f32_f16 v6, v21, v17, v6
	;;#ASMEND
	;;#ASMSTART
	v_dot2_f32_f16 v6, v22, v18, v6
	;;#ASMEND
	;;#ASMSTART
	v_dot2_f32_f16 v6, v23, v19, v6
	;;#ASMEND
	;;#ASMSTART
	v_dot2_f32_f16 v6, v24, v20, v6
	;;#ASMEND
	ds_read_b128 v[9:12], v98 offset:16
	ds_read_b128 v[13:16], v93 offset:528
	ds_read_b128 v[17:20], v93 offset:1680
	ds_read_b128 v[21:24], v98 offset:4624
	s_waitcnt lgkmcnt(2)
	;;#ASMSTART
	v_dot2_f32_f16 v7, v9, v13, v7
	;;#ASMEND
	;;#ASMSTART
	v_dot2_f32_f16 v7, v10, v14, v7
	;;#ASMEND
	;;#ASMSTART
	v_dot2_f32_f16 v7, v11, v15, v7
	;;#ASMEND
	;;#ASMSTART
	v_dot2_f32_f16 v7, v12, v16, v7
	;;#ASMEND
	s_waitcnt lgkmcnt(1)
	;;#ASMSTART
	v_dot2_f32_f16 v5, v9, v17, v5
	;;#ASMEND
	;;#ASMSTART
	v_dot2_f32_f16 v5, v10, v18, v5
	;;#ASMEND
	;;#ASMSTART
	v_dot2_f32_f16 v5, v11, v19, v5
	;;#ASMEND
	;;#ASMSTART
	v_dot2_f32_f16 v5, v12, v20, v5
	;;#ASMEND
	s_waitcnt lgkmcnt(0)
	;;#ASMSTART
	v_dot2_f32_f16 v8, v21, v13, v8
	;;#ASMEND
	;;#ASMSTART
	v_dot2_f32_f16 v8, v22, v14, v8
	;;#ASMEND
	;;#ASMSTART
	v_dot2_f32_f16 v8, v23, v15, v8
	;;#ASMEND
	;;#ASMSTART
	v_dot2_f32_f16 v8, v24, v16, v8
	;;#ASMEND
	;;#ASMSTART
	v_dot2_f32_f16 v6, v21, v17, v6
	;;#ASMEND
	;;#ASMSTART
	v_dot2_f32_f16 v6, v22, v18, v6
	;;#ASMEND
	;;#ASMSTART
	v_dot2_f32_f16 v6, v23, v19, v6
	;;#ASMEND
	;;#ASMSTART
	v_dot2_f32_f16 v6, v24, v20, v6
	;;#ASMEND
	ds_read_b128 v[9:12], v98 offset:32
	;; [unrolled: 55-line block ×7, first 2 shown]
	ds_read_b128 v[13:16], v93 offset:624
	ds_read_b128 v[17:20], v93 offset:1776
	;; [unrolled: 1-line block ×3, first 2 shown]
	s_waitcnt lgkmcnt(2)
	;;#ASMSTART
	v_dot2_f32_f16 v7, v9, v13, v7
	;;#ASMEND
	;;#ASMSTART
	v_dot2_f32_f16 v7, v10, v14, v7
	;;#ASMEND
	;;#ASMSTART
	v_dot2_f32_f16 v7, v11, v15, v7
	;;#ASMEND
	;;#ASMSTART
	v_dot2_f32_f16 v7, v12, v16, v7
	;;#ASMEND
	s_waitcnt lgkmcnt(1)
	;;#ASMSTART
	v_dot2_f32_f16 v5, v9, v17, v5
	;;#ASMEND
	;;#ASMSTART
	v_dot2_f32_f16 v5, v10, v18, v5
	;;#ASMEND
	;;#ASMSTART
	v_dot2_f32_f16 v5, v11, v19, v5
	;;#ASMEND
	;;#ASMSTART
	v_dot2_f32_f16 v5, v12, v20, v5
	;;#ASMEND
	;; [unrolled: 13-line block ×3, first 2 shown]
	;;#ASMSTART
	v_dot2_f32_f16 v6, v21, v17, v6
	;;#ASMEND
	;;#ASMSTART
	v_dot2_f32_f16 v6, v22, v18, v6
	;;#ASMEND
	;;#ASMSTART
	v_dot2_f32_f16 v6, v23, v19, v6
	;;#ASMEND
	;;#ASMSTART
	v_dot2_f32_f16 v6, v24, v20, v6
	;;#ASMEND
	s_barrier
	buffer_gl0_inv
	s_clause 0x1
	global_load_dwordx4 v[9:12], v[1:2], off offset:640
	global_load_dwordx4 v[13:16], v[3:4], off offset:640
	s_waitcnt vmcnt(1)
	ds_write_b128 v96, v[9:12]
	s_waitcnt vmcnt(0)
	ds_write_b128 v97, v[13:16]
	s_waitcnt lgkmcnt(0)
	s_barrier
	buffer_gl0_inv
	ds_read_b128 v[9:12], v98
	ds_read_b128 v[13:16], v93 offset:640
	ds_read_b128 v[17:20], v93 offset:1792
	ds_read_b128 v[21:24], v98 offset:4608
	s_waitcnt lgkmcnt(2)
	;;#ASMSTART
	v_dot2_f32_f16 v7, v9, v13, v7
	;;#ASMEND
	;;#ASMSTART
	v_dot2_f32_f16 v7, v10, v14, v7
	;;#ASMEND
	;;#ASMSTART
	v_dot2_f32_f16 v7, v11, v15, v7
	;;#ASMEND
	;;#ASMSTART
	v_dot2_f32_f16 v7, v12, v16, v7
	;;#ASMEND
	s_waitcnt lgkmcnt(1)
	;;#ASMSTART
	v_dot2_f32_f16 v5, v9, v17, v5
	;;#ASMEND
	;;#ASMSTART
	v_dot2_f32_f16 v5, v10, v18, v5
	;;#ASMEND
	;;#ASMSTART
	v_dot2_f32_f16 v5, v11, v19, v5
	;;#ASMEND
	;;#ASMSTART
	v_dot2_f32_f16 v5, v12, v20, v5
	;;#ASMEND
	s_waitcnt lgkmcnt(0)
	;;#ASMSTART
	v_dot2_f32_f16 v8, v21, v13, v8
	;;#ASMEND
	;;#ASMSTART
	v_dot2_f32_f16 v8, v22, v14, v8
	;;#ASMEND
	;;#ASMSTART
	v_dot2_f32_f16 v8, v23, v15, v8
	;;#ASMEND
	;;#ASMSTART
	v_dot2_f32_f16 v8, v24, v16, v8
	;;#ASMEND
	;;#ASMSTART
	v_dot2_f32_f16 v6, v21, v17, v6
	;;#ASMEND
	;;#ASMSTART
	v_dot2_f32_f16 v6, v22, v18, v6
	;;#ASMEND
	;;#ASMSTART
	v_dot2_f32_f16 v6, v23, v19, v6
	;;#ASMEND
	;;#ASMSTART
	v_dot2_f32_f16 v6, v24, v20, v6
	;;#ASMEND
	ds_read_b128 v[9:12], v98 offset:16
	ds_read_b128 v[13:16], v93 offset:656
	ds_read_b128 v[17:20], v93 offset:1808
	ds_read_b128 v[21:24], v98 offset:4624
	s_waitcnt lgkmcnt(2)
	;;#ASMSTART
	v_dot2_f32_f16 v7, v9, v13, v7
	;;#ASMEND
	;;#ASMSTART
	v_dot2_f32_f16 v7, v10, v14, v7
	;;#ASMEND
	;;#ASMSTART
	v_dot2_f32_f16 v7, v11, v15, v7
	;;#ASMEND
	;;#ASMSTART
	v_dot2_f32_f16 v7, v12, v16, v7
	;;#ASMEND
	s_waitcnt lgkmcnt(1)
	;;#ASMSTART
	v_dot2_f32_f16 v5, v9, v17, v5
	;;#ASMEND
	;;#ASMSTART
	v_dot2_f32_f16 v5, v10, v18, v5
	;;#ASMEND
	;;#ASMSTART
	v_dot2_f32_f16 v5, v11, v19, v5
	;;#ASMEND
	;;#ASMSTART
	v_dot2_f32_f16 v5, v12, v20, v5
	;;#ASMEND
	s_waitcnt lgkmcnt(0)
	;;#ASMSTART
	v_dot2_f32_f16 v8, v21, v13, v8
	;;#ASMEND
	;;#ASMSTART
	v_dot2_f32_f16 v8, v22, v14, v8
	;;#ASMEND
	;;#ASMSTART
	v_dot2_f32_f16 v8, v23, v15, v8
	;;#ASMEND
	;;#ASMSTART
	v_dot2_f32_f16 v8, v24, v16, v8
	;;#ASMEND
	;;#ASMSTART
	v_dot2_f32_f16 v6, v21, v17, v6
	;;#ASMEND
	;;#ASMSTART
	v_dot2_f32_f16 v6, v22, v18, v6
	;;#ASMEND
	;;#ASMSTART
	v_dot2_f32_f16 v6, v23, v19, v6
	;;#ASMEND
	;;#ASMSTART
	v_dot2_f32_f16 v6, v24, v20, v6
	;;#ASMEND
	ds_read_b128 v[9:12], v98 offset:32
	ds_read_b128 v[13:16], v93 offset:672
	ds_read_b128 v[17:20], v93 offset:1824
	ds_read_b128 v[21:24], v98 offset:4640
	s_waitcnt lgkmcnt(2)
	;;#ASMSTART
	v_dot2_f32_f16 v7, v9, v13, v7
	;;#ASMEND
	;;#ASMSTART
	v_dot2_f32_f16 v7, v10, v14, v7
	;;#ASMEND
	;;#ASMSTART
	v_dot2_f32_f16 v7, v11, v15, v7
	;;#ASMEND
	;;#ASMSTART
	v_dot2_f32_f16 v7, v12, v16, v7
	;;#ASMEND
	s_waitcnt lgkmcnt(1)
	;;#ASMSTART
	v_dot2_f32_f16 v5, v9, v17, v5
	;;#ASMEND
	;;#ASMSTART
	v_dot2_f32_f16 v5, v10, v18, v5
	;;#ASMEND
	;;#ASMSTART
	v_dot2_f32_f16 v5, v11, v19, v5
	;;#ASMEND
	;;#ASMSTART
	v_dot2_f32_f16 v5, v12, v20, v5
	;;#ASMEND
	s_waitcnt lgkmcnt(0)
	;;#ASMSTART
	v_dot2_f32_f16 v8, v21, v13, v8
	;;#ASMEND
	;;#ASMSTART
	v_dot2_f32_f16 v8, v22, v14, v8
	;;#ASMEND
	;;#ASMSTART
	v_dot2_f32_f16 v8, v23, v15, v8
	;;#ASMEND
	;;#ASMSTART
	v_dot2_f32_f16 v8, v24, v16, v8
	;;#ASMEND
	;;#ASMSTART
	v_dot2_f32_f16 v6, v21, v17, v6
	;;#ASMEND
	;;#ASMSTART
	v_dot2_f32_f16 v6, v22, v18, v6
	;;#ASMEND
	;;#ASMSTART
	v_dot2_f32_f16 v6, v23, v19, v6
	;;#ASMEND
	;;#ASMSTART
	v_dot2_f32_f16 v6, v24, v20, v6
	;;#ASMEND
	ds_read_b128 v[9:12], v98 offset:48
	ds_read_b128 v[13:16], v93 offset:688
	ds_read_b128 v[17:20], v93 offset:1840
	ds_read_b128 v[21:24], v98 offset:4656
	s_waitcnt lgkmcnt(2)
	;;#ASMSTART
	v_dot2_f32_f16 v7, v9, v13, v7
	;;#ASMEND
	;;#ASMSTART
	v_dot2_f32_f16 v7, v10, v14, v7
	;;#ASMEND
	;;#ASMSTART
	v_dot2_f32_f16 v7, v11, v15, v7
	;;#ASMEND
	;;#ASMSTART
	v_dot2_f32_f16 v7, v12, v16, v7
	;;#ASMEND
	s_waitcnt lgkmcnt(1)
	;;#ASMSTART
	v_dot2_f32_f16 v5, v9, v17, v5
	;;#ASMEND
	;;#ASMSTART
	v_dot2_f32_f16 v5, v10, v18, v5
	;;#ASMEND
	;;#ASMSTART
	v_dot2_f32_f16 v5, v11, v19, v5
	;;#ASMEND
	;;#ASMSTART
	v_dot2_f32_f16 v5, v12, v20, v5
	;;#ASMEND
	s_waitcnt lgkmcnt(0)
	;;#ASMSTART
	v_dot2_f32_f16 v8, v21, v13, v8
	;;#ASMEND
	;;#ASMSTART
	v_dot2_f32_f16 v8, v22, v14, v8
	;;#ASMEND
	;;#ASMSTART
	v_dot2_f32_f16 v8, v23, v15, v8
	;;#ASMEND
	;;#ASMSTART
	v_dot2_f32_f16 v8, v24, v16, v8
	;;#ASMEND
	;;#ASMSTART
	v_dot2_f32_f16 v6, v21, v17, v6
	;;#ASMEND
	;;#ASMSTART
	v_dot2_f32_f16 v6, v22, v18, v6
	;;#ASMEND
	;;#ASMSTART
	v_dot2_f32_f16 v6, v23, v19, v6
	;;#ASMEND
	;;#ASMSTART
	v_dot2_f32_f16 v6, v24, v20, v6
	;;#ASMEND
	ds_read_b128 v[9:12], v98 offset:64
	ds_read_b128 v[13:16], v93 offset:704
	ds_read_b128 v[17:20], v93 offset:1856
	ds_read_b128 v[21:24], v98 offset:4672
	s_waitcnt lgkmcnt(2)
	;;#ASMSTART
	v_dot2_f32_f16 v7, v9, v13, v7
	;;#ASMEND
	;;#ASMSTART
	v_dot2_f32_f16 v7, v10, v14, v7
	;;#ASMEND
	;;#ASMSTART
	v_dot2_f32_f16 v7, v11, v15, v7
	;;#ASMEND
	;;#ASMSTART
	v_dot2_f32_f16 v7, v12, v16, v7
	;;#ASMEND
	s_waitcnt lgkmcnt(1)
	;;#ASMSTART
	v_dot2_f32_f16 v5, v9, v17, v5
	;;#ASMEND
	;;#ASMSTART
	v_dot2_f32_f16 v5, v10, v18, v5
	;;#ASMEND
	;;#ASMSTART
	v_dot2_f32_f16 v5, v11, v19, v5
	;;#ASMEND
	;;#ASMSTART
	v_dot2_f32_f16 v5, v12, v20, v5
	;;#ASMEND
	s_waitcnt lgkmcnt(0)
	;;#ASMSTART
	v_dot2_f32_f16 v8, v21, v13, v8
	;;#ASMEND
	;;#ASMSTART
	v_dot2_f32_f16 v8, v22, v14, v8
	;;#ASMEND
	;;#ASMSTART
	v_dot2_f32_f16 v8, v23, v15, v8
	;;#ASMEND
	;;#ASMSTART
	v_dot2_f32_f16 v8, v24, v16, v8
	;;#ASMEND
	;;#ASMSTART
	v_dot2_f32_f16 v6, v21, v17, v6
	;;#ASMEND
	;;#ASMSTART
	v_dot2_f32_f16 v6, v22, v18, v6
	;;#ASMEND
	;;#ASMSTART
	v_dot2_f32_f16 v6, v23, v19, v6
	;;#ASMEND
	;;#ASMSTART
	v_dot2_f32_f16 v6, v24, v20, v6
	;;#ASMEND
	ds_read_b128 v[9:12], v98 offset:80
	ds_read_b128 v[13:16], v93 offset:720
	ds_read_b128 v[17:20], v93 offset:1872
	ds_read_b128 v[21:24], v98 offset:4688
	s_waitcnt lgkmcnt(2)
	;;#ASMSTART
	v_dot2_f32_f16 v7, v9, v13, v7
	;;#ASMEND
	;;#ASMSTART
	v_dot2_f32_f16 v7, v10, v14, v7
	;;#ASMEND
	;;#ASMSTART
	v_dot2_f32_f16 v7, v11, v15, v7
	;;#ASMEND
	;;#ASMSTART
	v_dot2_f32_f16 v7, v12, v16, v7
	;;#ASMEND
	s_waitcnt lgkmcnt(1)
	;;#ASMSTART
	v_dot2_f32_f16 v5, v9, v17, v5
	;;#ASMEND
	;;#ASMSTART
	v_dot2_f32_f16 v5, v10, v18, v5
	;;#ASMEND
	;;#ASMSTART
	v_dot2_f32_f16 v5, v11, v19, v5
	;;#ASMEND
	;;#ASMSTART
	v_dot2_f32_f16 v5, v12, v20, v5
	;;#ASMEND
	s_waitcnt lgkmcnt(0)
	;;#ASMSTART
	v_dot2_f32_f16 v8, v21, v13, v8
	;;#ASMEND
	;;#ASMSTART
	v_dot2_f32_f16 v8, v22, v14, v8
	;;#ASMEND
	;;#ASMSTART
	v_dot2_f32_f16 v8, v23, v15, v8
	;;#ASMEND
	;;#ASMSTART
	v_dot2_f32_f16 v8, v24, v16, v8
	;;#ASMEND
	;;#ASMSTART
	v_dot2_f32_f16 v6, v21, v17, v6
	;;#ASMEND
	;;#ASMSTART
	v_dot2_f32_f16 v6, v22, v18, v6
	;;#ASMEND
	;;#ASMSTART
	v_dot2_f32_f16 v6, v23, v19, v6
	;;#ASMEND
	;;#ASMSTART
	v_dot2_f32_f16 v6, v24, v20, v6
	;;#ASMEND
	ds_read_b128 v[9:12], v98 offset:96
	ds_read_b128 v[13:16], v93 offset:736
	ds_read_b128 v[17:20], v93 offset:1888
	ds_read_b128 v[21:24], v98 offset:4704
	s_waitcnt lgkmcnt(2)
	;;#ASMSTART
	v_dot2_f32_f16 v7, v9, v13, v7
	;;#ASMEND
	;;#ASMSTART
	v_dot2_f32_f16 v7, v10, v14, v7
	;;#ASMEND
	;;#ASMSTART
	v_dot2_f32_f16 v7, v11, v15, v7
	;;#ASMEND
	;;#ASMSTART
	v_dot2_f32_f16 v7, v12, v16, v7
	;;#ASMEND
	s_waitcnt lgkmcnt(1)
	;;#ASMSTART
	v_dot2_f32_f16 v5, v9, v17, v5
	;;#ASMEND
	;;#ASMSTART
	v_dot2_f32_f16 v5, v10, v18, v5
	;;#ASMEND
	;;#ASMSTART
	v_dot2_f32_f16 v5, v11, v19, v5
	;;#ASMEND
	;;#ASMSTART
	v_dot2_f32_f16 v5, v12, v20, v5
	;;#ASMEND
	s_waitcnt lgkmcnt(0)
	;;#ASMSTART
	v_dot2_f32_f16 v8, v21, v13, v8
	;;#ASMEND
	;;#ASMSTART
	v_dot2_f32_f16 v8, v22, v14, v8
	;;#ASMEND
	;;#ASMSTART
	v_dot2_f32_f16 v8, v23, v15, v8
	;;#ASMEND
	;;#ASMSTART
	v_dot2_f32_f16 v8, v24, v16, v8
	;;#ASMEND
	;;#ASMSTART
	v_dot2_f32_f16 v6, v21, v17, v6
	;;#ASMEND
	;;#ASMSTART
	v_dot2_f32_f16 v6, v22, v18, v6
	;;#ASMEND
	;;#ASMSTART
	v_dot2_f32_f16 v6, v23, v19, v6
	;;#ASMEND
	;;#ASMSTART
	v_dot2_f32_f16 v6, v24, v20, v6
	;;#ASMEND
	ds_read_b128 v[9:12], v98 offset:112
	ds_read_b128 v[13:16], v93 offset:752
	ds_read_b128 v[17:20], v93 offset:1904
	;; [unrolled: 1-line block ×3, first 2 shown]
	s_waitcnt lgkmcnt(2)
	;;#ASMSTART
	v_dot2_f32_f16 v7, v9, v13, v7
	;;#ASMEND
	;;#ASMSTART
	v_dot2_f32_f16 v7, v10, v14, v7
	;;#ASMEND
	;;#ASMSTART
	v_dot2_f32_f16 v7, v11, v15, v7
	;;#ASMEND
	;;#ASMSTART
	v_dot2_f32_f16 v7, v12, v16, v7
	;;#ASMEND
	s_waitcnt lgkmcnt(1)
	;;#ASMSTART
	v_dot2_f32_f16 v5, v9, v17, v5
	;;#ASMEND
	;;#ASMSTART
	v_dot2_f32_f16 v5, v10, v18, v5
	;;#ASMEND
	;;#ASMSTART
	v_dot2_f32_f16 v5, v11, v19, v5
	;;#ASMEND
	;;#ASMSTART
	v_dot2_f32_f16 v5, v12, v20, v5
	;;#ASMEND
	;; [unrolled: 13-line block ×3, first 2 shown]
	;;#ASMSTART
	v_dot2_f32_f16 v6, v21, v17, v6
	;;#ASMEND
	;;#ASMSTART
	v_dot2_f32_f16 v6, v22, v18, v6
	;;#ASMEND
	;; [unrolled: 3-line block ×4, first 2 shown]
	s_barrier
	buffer_gl0_inv
	s_clause 0x1
	global_load_dwordx4 v[9:12], v[1:2], off offset:768
	global_load_dwordx4 v[13:16], v[3:4], off offset:768
	s_waitcnt vmcnt(1)
	ds_write_b128 v96, v[9:12]
	s_waitcnt vmcnt(0)
	ds_write_b128 v97, v[13:16]
	s_waitcnt lgkmcnt(0)
	s_barrier
	buffer_gl0_inv
	ds_read_b128 v[9:12], v98
	ds_read_b128 v[13:16], v93 offset:768
	ds_read_b128 v[17:20], v93 offset:1920
	ds_read_b128 v[21:24], v98 offset:4608
	s_waitcnt lgkmcnt(2)
	;;#ASMSTART
	v_dot2_f32_f16 v7, v9, v13, v7
	;;#ASMEND
	;;#ASMSTART
	v_dot2_f32_f16 v7, v10, v14, v7
	;;#ASMEND
	;;#ASMSTART
	v_dot2_f32_f16 v7, v11, v15, v7
	;;#ASMEND
	;;#ASMSTART
	v_dot2_f32_f16 v7, v12, v16, v7
	;;#ASMEND
	s_waitcnt lgkmcnt(1)
	;;#ASMSTART
	v_dot2_f32_f16 v5, v9, v17, v5
	;;#ASMEND
	;;#ASMSTART
	v_dot2_f32_f16 v5, v10, v18, v5
	;;#ASMEND
	;;#ASMSTART
	v_dot2_f32_f16 v5, v11, v19, v5
	;;#ASMEND
	;;#ASMSTART
	v_dot2_f32_f16 v5, v12, v20, v5
	;;#ASMEND
	s_waitcnt lgkmcnt(0)
	;;#ASMSTART
	v_dot2_f32_f16 v8, v21, v13, v8
	;;#ASMEND
	;;#ASMSTART
	v_dot2_f32_f16 v8, v22, v14, v8
	;;#ASMEND
	;;#ASMSTART
	v_dot2_f32_f16 v8, v23, v15, v8
	;;#ASMEND
	;;#ASMSTART
	v_dot2_f32_f16 v8, v24, v16, v8
	;;#ASMEND
	;;#ASMSTART
	v_dot2_f32_f16 v6, v21, v17, v6
	;;#ASMEND
	;;#ASMSTART
	v_dot2_f32_f16 v6, v22, v18, v6
	;;#ASMEND
	;;#ASMSTART
	v_dot2_f32_f16 v6, v23, v19, v6
	;;#ASMEND
	;;#ASMSTART
	v_dot2_f32_f16 v6, v24, v20, v6
	;;#ASMEND
	ds_read_b128 v[9:12], v98 offset:16
	ds_read_b128 v[13:16], v93 offset:784
	ds_read_b128 v[17:20], v93 offset:1936
	ds_read_b128 v[21:24], v98 offset:4624
	s_waitcnt lgkmcnt(2)
	;;#ASMSTART
	v_dot2_f32_f16 v7, v9, v13, v7
	;;#ASMEND
	;;#ASMSTART
	v_dot2_f32_f16 v7, v10, v14, v7
	;;#ASMEND
	;;#ASMSTART
	v_dot2_f32_f16 v7, v11, v15, v7
	;;#ASMEND
	;;#ASMSTART
	v_dot2_f32_f16 v7, v12, v16, v7
	;;#ASMEND
	s_waitcnt lgkmcnt(1)
	;;#ASMSTART
	v_dot2_f32_f16 v5, v9, v17, v5
	;;#ASMEND
	;;#ASMSTART
	v_dot2_f32_f16 v5, v10, v18, v5
	;;#ASMEND
	;;#ASMSTART
	v_dot2_f32_f16 v5, v11, v19, v5
	;;#ASMEND
	;;#ASMSTART
	v_dot2_f32_f16 v5, v12, v20, v5
	;;#ASMEND
	s_waitcnt lgkmcnt(0)
	;;#ASMSTART
	v_dot2_f32_f16 v8, v21, v13, v8
	;;#ASMEND
	;;#ASMSTART
	v_dot2_f32_f16 v8, v22, v14, v8
	;;#ASMEND
	;;#ASMSTART
	v_dot2_f32_f16 v8, v23, v15, v8
	;;#ASMEND
	;;#ASMSTART
	v_dot2_f32_f16 v8, v24, v16, v8
	;;#ASMEND
	;;#ASMSTART
	v_dot2_f32_f16 v6, v21, v17, v6
	;;#ASMEND
	;;#ASMSTART
	v_dot2_f32_f16 v6, v22, v18, v6
	;;#ASMEND
	;;#ASMSTART
	v_dot2_f32_f16 v6, v23, v19, v6
	;;#ASMEND
	;;#ASMSTART
	v_dot2_f32_f16 v6, v24, v20, v6
	;;#ASMEND
	ds_read_b128 v[9:12], v98 offset:32
	;; [unrolled: 55-line block ×7, first 2 shown]
	ds_read_b128 v[13:16], v93 offset:880
	ds_read_b128 v[17:20], v93 offset:2032
	;; [unrolled: 1-line block ×3, first 2 shown]
	s_waitcnt lgkmcnt(2)
	;;#ASMSTART
	v_dot2_f32_f16 v7, v9, v13, v7
	;;#ASMEND
	;;#ASMSTART
	v_dot2_f32_f16 v7, v10, v14, v7
	;;#ASMEND
	;;#ASMSTART
	v_dot2_f32_f16 v7, v11, v15, v7
	;;#ASMEND
	;;#ASMSTART
	v_dot2_f32_f16 v7, v12, v16, v7
	;;#ASMEND
	s_waitcnt lgkmcnt(1)
	;;#ASMSTART
	v_dot2_f32_f16 v5, v9, v17, v5
	;;#ASMEND
	;;#ASMSTART
	v_dot2_f32_f16 v5, v10, v18, v5
	;;#ASMEND
	;;#ASMSTART
	v_dot2_f32_f16 v5, v11, v19, v5
	;;#ASMEND
	;;#ASMSTART
	v_dot2_f32_f16 v5, v12, v20, v5
	;;#ASMEND
	;; [unrolled: 13-line block ×3, first 2 shown]
	;;#ASMSTART
	v_dot2_f32_f16 v6, v21, v17, v6
	;;#ASMEND
	;;#ASMSTART
	v_dot2_f32_f16 v6, v22, v18, v6
	;;#ASMEND
	;; [unrolled: 3-line block ×4, first 2 shown]
	s_barrier
	buffer_gl0_inv
	s_clause 0x1
	global_load_dwordx4 v[9:12], v[1:2], off offset:896
	global_load_dwordx4 v[13:16], v[3:4], off offset:896
	s_waitcnt vmcnt(1)
	ds_write_b128 v96, v[9:12]
	s_waitcnt vmcnt(0)
	ds_write_b128 v97, v[13:16]
	s_waitcnt lgkmcnt(0)
	s_barrier
	buffer_gl0_inv
	ds_read_b128 v[9:12], v98
	ds_read_b128 v[13:16], v93 offset:896
	ds_read_b128 v[17:20], v93 offset:2048
	ds_read_b128 v[21:24], v98 offset:4608
	s_waitcnt lgkmcnt(2)
	;;#ASMSTART
	v_dot2_f32_f16 v7, v9, v13, v7
	;;#ASMEND
	;;#ASMSTART
	v_dot2_f32_f16 v7, v10, v14, v7
	;;#ASMEND
	;;#ASMSTART
	v_dot2_f32_f16 v7, v11, v15, v7
	;;#ASMEND
	;;#ASMSTART
	v_dot2_f32_f16 v7, v12, v16, v7
	;;#ASMEND
	s_waitcnt lgkmcnt(1)
	;;#ASMSTART
	v_dot2_f32_f16 v5, v9, v17, v5
	;;#ASMEND
	;;#ASMSTART
	v_dot2_f32_f16 v5, v10, v18, v5
	;;#ASMEND
	;;#ASMSTART
	v_dot2_f32_f16 v5, v11, v19, v5
	;;#ASMEND
	;;#ASMSTART
	v_dot2_f32_f16 v5, v12, v20, v5
	;;#ASMEND
	s_waitcnt lgkmcnt(0)
	;;#ASMSTART
	v_dot2_f32_f16 v8, v21, v13, v8
	;;#ASMEND
	;;#ASMSTART
	v_dot2_f32_f16 v8, v22, v14, v8
	;;#ASMEND
	;;#ASMSTART
	v_dot2_f32_f16 v8, v23, v15, v8
	;;#ASMEND
	;;#ASMSTART
	v_dot2_f32_f16 v8, v24, v16, v8
	;;#ASMEND
	;;#ASMSTART
	v_dot2_f32_f16 v6, v21, v17, v6
	;;#ASMEND
	;;#ASMSTART
	v_dot2_f32_f16 v6, v22, v18, v6
	;;#ASMEND
	;;#ASMSTART
	v_dot2_f32_f16 v6, v23, v19, v6
	;;#ASMEND
	;;#ASMSTART
	v_dot2_f32_f16 v6, v24, v20, v6
	;;#ASMEND
	ds_read_b128 v[9:12], v98 offset:16
	ds_read_b128 v[13:16], v93 offset:912
	ds_read_b128 v[17:20], v93 offset:2064
	ds_read_b128 v[21:24], v98 offset:4624
	s_waitcnt lgkmcnt(2)
	;;#ASMSTART
	v_dot2_f32_f16 v7, v9, v13, v7
	;;#ASMEND
	;;#ASMSTART
	v_dot2_f32_f16 v7, v10, v14, v7
	;;#ASMEND
	;;#ASMSTART
	v_dot2_f32_f16 v7, v11, v15, v7
	;;#ASMEND
	;;#ASMSTART
	v_dot2_f32_f16 v7, v12, v16, v7
	;;#ASMEND
	s_waitcnt lgkmcnt(1)
	;;#ASMSTART
	v_dot2_f32_f16 v5, v9, v17, v5
	;;#ASMEND
	;;#ASMSTART
	v_dot2_f32_f16 v5, v10, v18, v5
	;;#ASMEND
	;;#ASMSTART
	v_dot2_f32_f16 v5, v11, v19, v5
	;;#ASMEND
	;;#ASMSTART
	v_dot2_f32_f16 v5, v12, v20, v5
	;;#ASMEND
	s_waitcnt lgkmcnt(0)
	;;#ASMSTART
	v_dot2_f32_f16 v8, v21, v13, v8
	;;#ASMEND
	;;#ASMSTART
	v_dot2_f32_f16 v8, v22, v14, v8
	;;#ASMEND
	;;#ASMSTART
	v_dot2_f32_f16 v8, v23, v15, v8
	;;#ASMEND
	;;#ASMSTART
	v_dot2_f32_f16 v8, v24, v16, v8
	;;#ASMEND
	;;#ASMSTART
	v_dot2_f32_f16 v6, v21, v17, v6
	;;#ASMEND
	;;#ASMSTART
	v_dot2_f32_f16 v6, v22, v18, v6
	;;#ASMEND
	;;#ASMSTART
	v_dot2_f32_f16 v6, v23, v19, v6
	;;#ASMEND
	;;#ASMSTART
	v_dot2_f32_f16 v6, v24, v20, v6
	;;#ASMEND
	ds_read_b128 v[9:12], v98 offset:32
	ds_read_b128 v[13:16], v93 offset:928
	ds_read_b128 v[17:20], v93 offset:2080
	ds_read_b128 v[21:24], v98 offset:4640
	s_waitcnt lgkmcnt(2)
	;;#ASMSTART
	v_dot2_f32_f16 v7, v9, v13, v7
	;;#ASMEND
	;;#ASMSTART
	v_dot2_f32_f16 v7, v10, v14, v7
	;;#ASMEND
	;;#ASMSTART
	v_dot2_f32_f16 v7, v11, v15, v7
	;;#ASMEND
	;;#ASMSTART
	v_dot2_f32_f16 v7, v12, v16, v7
	;;#ASMEND
	s_waitcnt lgkmcnt(1)
	;;#ASMSTART
	v_dot2_f32_f16 v5, v9, v17, v5
	;;#ASMEND
	;;#ASMSTART
	v_dot2_f32_f16 v5, v10, v18, v5
	;;#ASMEND
	;;#ASMSTART
	v_dot2_f32_f16 v5, v11, v19, v5
	;;#ASMEND
	;;#ASMSTART
	v_dot2_f32_f16 v5, v12, v20, v5
	;;#ASMEND
	s_waitcnt lgkmcnt(0)
	;;#ASMSTART
	v_dot2_f32_f16 v8, v21, v13, v8
	;;#ASMEND
	;;#ASMSTART
	v_dot2_f32_f16 v8, v22, v14, v8
	;;#ASMEND
	;;#ASMSTART
	v_dot2_f32_f16 v8, v23, v15, v8
	;;#ASMEND
	;;#ASMSTART
	v_dot2_f32_f16 v8, v24, v16, v8
	;;#ASMEND
	;;#ASMSTART
	v_dot2_f32_f16 v6, v21, v17, v6
	;;#ASMEND
	;;#ASMSTART
	v_dot2_f32_f16 v6, v22, v18, v6
	;;#ASMEND
	;;#ASMSTART
	v_dot2_f32_f16 v6, v23, v19, v6
	;;#ASMEND
	;;#ASMSTART
	v_dot2_f32_f16 v6, v24, v20, v6
	;;#ASMEND
	ds_read_b128 v[9:12], v98 offset:48
	ds_read_b128 v[13:16], v93 offset:944
	ds_read_b128 v[17:20], v93 offset:2096
	ds_read_b128 v[21:24], v98 offset:4656
	s_waitcnt lgkmcnt(2)
	;;#ASMSTART
	v_dot2_f32_f16 v7, v9, v13, v7
	;;#ASMEND
	;;#ASMSTART
	v_dot2_f32_f16 v7, v10, v14, v7
	;;#ASMEND
	;;#ASMSTART
	v_dot2_f32_f16 v7, v11, v15, v7
	;;#ASMEND
	;;#ASMSTART
	v_dot2_f32_f16 v7, v12, v16, v7
	;;#ASMEND
	s_waitcnt lgkmcnt(1)
	;;#ASMSTART
	v_dot2_f32_f16 v5, v9, v17, v5
	;;#ASMEND
	;;#ASMSTART
	v_dot2_f32_f16 v5, v10, v18, v5
	;;#ASMEND
	;;#ASMSTART
	v_dot2_f32_f16 v5, v11, v19, v5
	;;#ASMEND
	;;#ASMSTART
	v_dot2_f32_f16 v5, v12, v20, v5
	;;#ASMEND
	s_waitcnt lgkmcnt(0)
	;;#ASMSTART
	v_dot2_f32_f16 v8, v21, v13, v8
	;;#ASMEND
	;;#ASMSTART
	v_dot2_f32_f16 v8, v22, v14, v8
	;;#ASMEND
	;;#ASMSTART
	v_dot2_f32_f16 v8, v23, v15, v8
	;;#ASMEND
	;;#ASMSTART
	v_dot2_f32_f16 v8, v24, v16, v8
	;;#ASMEND
	;;#ASMSTART
	v_dot2_f32_f16 v6, v21, v17, v6
	;;#ASMEND
	;;#ASMSTART
	v_dot2_f32_f16 v6, v22, v18, v6
	;;#ASMEND
	;;#ASMSTART
	v_dot2_f32_f16 v6, v23, v19, v6
	;;#ASMEND
	;;#ASMSTART
	v_dot2_f32_f16 v6, v24, v20, v6
	;;#ASMEND
	ds_read_b128 v[9:12], v98 offset:64
	ds_read_b128 v[13:16], v93 offset:960
	ds_read_b128 v[17:20], v93 offset:2112
	ds_read_b128 v[21:24], v98 offset:4672
	s_waitcnt lgkmcnt(2)
	;;#ASMSTART
	v_dot2_f32_f16 v7, v9, v13, v7
	;;#ASMEND
	;;#ASMSTART
	v_dot2_f32_f16 v7, v10, v14, v7
	;;#ASMEND
	;;#ASMSTART
	v_dot2_f32_f16 v7, v11, v15, v7
	;;#ASMEND
	;;#ASMSTART
	v_dot2_f32_f16 v7, v12, v16, v7
	;;#ASMEND
	s_waitcnt lgkmcnt(1)
	;;#ASMSTART
	v_dot2_f32_f16 v5, v9, v17, v5
	;;#ASMEND
	;;#ASMSTART
	v_dot2_f32_f16 v5, v10, v18, v5
	;;#ASMEND
	;;#ASMSTART
	v_dot2_f32_f16 v5, v11, v19, v5
	;;#ASMEND
	;;#ASMSTART
	v_dot2_f32_f16 v5, v12, v20, v5
	;;#ASMEND
	s_waitcnt lgkmcnt(0)
	;;#ASMSTART
	v_dot2_f32_f16 v8, v21, v13, v8
	;;#ASMEND
	;;#ASMSTART
	v_dot2_f32_f16 v8, v22, v14, v8
	;;#ASMEND
	;;#ASMSTART
	v_dot2_f32_f16 v8, v23, v15, v8
	;;#ASMEND
	;;#ASMSTART
	v_dot2_f32_f16 v8, v24, v16, v8
	;;#ASMEND
	;;#ASMSTART
	v_dot2_f32_f16 v6, v21, v17, v6
	;;#ASMEND
	;;#ASMSTART
	v_dot2_f32_f16 v6, v22, v18, v6
	;;#ASMEND
	;;#ASMSTART
	v_dot2_f32_f16 v6, v23, v19, v6
	;;#ASMEND
	;;#ASMSTART
	v_dot2_f32_f16 v6, v24, v20, v6
	;;#ASMEND
	ds_read_b128 v[9:12], v98 offset:80
	ds_read_b128 v[13:16], v93 offset:976
	ds_read_b128 v[17:20], v93 offset:2128
	ds_read_b128 v[21:24], v98 offset:4688
	s_waitcnt lgkmcnt(2)
	;;#ASMSTART
	v_dot2_f32_f16 v7, v9, v13, v7
	;;#ASMEND
	;;#ASMSTART
	v_dot2_f32_f16 v7, v10, v14, v7
	;;#ASMEND
	;;#ASMSTART
	v_dot2_f32_f16 v7, v11, v15, v7
	;;#ASMEND
	;;#ASMSTART
	v_dot2_f32_f16 v7, v12, v16, v7
	;;#ASMEND
	s_waitcnt lgkmcnt(1)
	;;#ASMSTART
	v_dot2_f32_f16 v5, v9, v17, v5
	;;#ASMEND
	;;#ASMSTART
	v_dot2_f32_f16 v5, v10, v18, v5
	;;#ASMEND
	;;#ASMSTART
	v_dot2_f32_f16 v5, v11, v19, v5
	;;#ASMEND
	;;#ASMSTART
	v_dot2_f32_f16 v5, v12, v20, v5
	;;#ASMEND
	s_waitcnt lgkmcnt(0)
	;;#ASMSTART
	v_dot2_f32_f16 v8, v21, v13, v8
	;;#ASMEND
	;;#ASMSTART
	v_dot2_f32_f16 v8, v22, v14, v8
	;;#ASMEND
	;;#ASMSTART
	v_dot2_f32_f16 v8, v23, v15, v8
	;;#ASMEND
	;;#ASMSTART
	v_dot2_f32_f16 v8, v24, v16, v8
	;;#ASMEND
	;;#ASMSTART
	v_dot2_f32_f16 v6, v21, v17, v6
	;;#ASMEND
	;;#ASMSTART
	v_dot2_f32_f16 v6, v22, v18, v6
	;;#ASMEND
	;;#ASMSTART
	v_dot2_f32_f16 v6, v23, v19, v6
	;;#ASMEND
	;;#ASMSTART
	v_dot2_f32_f16 v6, v24, v20, v6
	;;#ASMEND
	ds_read_b128 v[9:12], v98 offset:96
	ds_read_b128 v[13:16], v93 offset:992
	ds_read_b128 v[17:20], v93 offset:2144
	ds_read_b128 v[21:24], v98 offset:4704
	s_waitcnt lgkmcnt(2)
	;;#ASMSTART
	v_dot2_f32_f16 v7, v9, v13, v7
	;;#ASMEND
	;;#ASMSTART
	v_dot2_f32_f16 v7, v10, v14, v7
	;;#ASMEND
	;;#ASMSTART
	v_dot2_f32_f16 v7, v11, v15, v7
	;;#ASMEND
	;;#ASMSTART
	v_dot2_f32_f16 v7, v12, v16, v7
	;;#ASMEND
	s_waitcnt lgkmcnt(1)
	;;#ASMSTART
	v_dot2_f32_f16 v5, v9, v17, v5
	;;#ASMEND
	;;#ASMSTART
	v_dot2_f32_f16 v5, v10, v18, v5
	;;#ASMEND
	;;#ASMSTART
	v_dot2_f32_f16 v5, v11, v19, v5
	;;#ASMEND
	;;#ASMSTART
	v_dot2_f32_f16 v5, v12, v20, v5
	;;#ASMEND
	s_waitcnt lgkmcnt(0)
	;;#ASMSTART
	v_dot2_f32_f16 v8, v21, v13, v8
	;;#ASMEND
	;;#ASMSTART
	v_dot2_f32_f16 v8, v22, v14, v8
	;;#ASMEND
	;;#ASMSTART
	v_dot2_f32_f16 v8, v23, v15, v8
	;;#ASMEND
	;;#ASMSTART
	v_dot2_f32_f16 v8, v24, v16, v8
	;;#ASMEND
	;;#ASMSTART
	v_dot2_f32_f16 v6, v21, v17, v6
	;;#ASMEND
	;;#ASMSTART
	v_dot2_f32_f16 v6, v22, v18, v6
	;;#ASMEND
	;;#ASMSTART
	v_dot2_f32_f16 v6, v23, v19, v6
	;;#ASMEND
	;;#ASMSTART
	v_dot2_f32_f16 v6, v24, v20, v6
	;;#ASMEND
	ds_read_b128 v[9:12], v98 offset:112
	ds_read_b128 v[13:16], v93 offset:1008
	ds_read_b128 v[17:20], v93 offset:2160
	;; [unrolled: 1-line block ×3, first 2 shown]
	s_waitcnt lgkmcnt(2)
	;;#ASMSTART
	v_dot2_f32_f16 v7, v9, v13, v7
	;;#ASMEND
	;;#ASMSTART
	v_dot2_f32_f16 v7, v10, v14, v7
	;;#ASMEND
	;;#ASMSTART
	v_dot2_f32_f16 v7, v11, v15, v7
	;;#ASMEND
	;;#ASMSTART
	v_dot2_f32_f16 v7, v12, v16, v7
	;;#ASMEND
	s_waitcnt lgkmcnt(1)
	;;#ASMSTART
	v_dot2_f32_f16 v5, v9, v17, v5
	;;#ASMEND
	;;#ASMSTART
	v_dot2_f32_f16 v5, v10, v18, v5
	;;#ASMEND
	;;#ASMSTART
	v_dot2_f32_f16 v5, v11, v19, v5
	;;#ASMEND
	;;#ASMSTART
	v_dot2_f32_f16 v5, v12, v20, v5
	;;#ASMEND
	;; [unrolled: 13-line block ×3, first 2 shown]
	;;#ASMSTART
	v_dot2_f32_f16 v6, v21, v17, v6
	;;#ASMEND
	;;#ASMSTART
	v_dot2_f32_f16 v6, v22, v18, v6
	;;#ASMEND
	;; [unrolled: 3-line block ×4, first 2 shown]
	s_barrier
	buffer_gl0_inv
	s_clause 0x1
	global_load_dwordx4 v[9:12], v[1:2], off offset:1024
	global_load_dwordx4 v[1:4], v[3:4], off offset:1024
	s_waitcnt vmcnt(1)
	ds_write_b128 v96, v[9:12]
	s_waitcnt vmcnt(0)
	ds_write_b128 v97, v[1:4]
	s_waitcnt lgkmcnt(0)
	s_barrier
	buffer_gl0_inv
	ds_read_b128 v[1:4], v98
	ds_read_b128 v[9:12], v93 offset:1024
	ds_read_b128 v[13:16], v93 offset:2176
	ds_read_b128 v[17:20], v98 offset:4608
	s_waitcnt lgkmcnt(2)
	;;#ASMSTART
	v_dot2_f32_f16 v7, v1, v9, v7
	;;#ASMEND
	;;#ASMSTART
	v_dot2_f32_f16 v7, v2, v10, v7
	;;#ASMEND
	;;#ASMSTART
	v_dot2_f32_f16 v7, v3, v11, v7
	;;#ASMEND
	;;#ASMSTART
	v_dot2_f32_f16 v7, v4, v12, v7
	;;#ASMEND
	s_waitcnt lgkmcnt(1)
	;;#ASMSTART
	v_dot2_f32_f16 v5, v1, v13, v5
	;;#ASMEND
	;;#ASMSTART
	v_dot2_f32_f16 v5, v2, v14, v5
	;;#ASMEND
	;;#ASMSTART
	v_dot2_f32_f16 v5, v3, v15, v5
	;;#ASMEND
	;;#ASMSTART
	v_dot2_f32_f16 v5, v4, v16, v5
	;;#ASMEND
	s_waitcnt lgkmcnt(0)
	;;#ASMSTART
	v_dot2_f32_f16 v8, v17, v9, v8
	;;#ASMEND
	;;#ASMSTART
	v_dot2_f32_f16 v8, v18, v10, v8
	;;#ASMEND
	;;#ASMSTART
	v_dot2_f32_f16 v8, v19, v11, v8
	;;#ASMEND
	;;#ASMSTART
	v_dot2_f32_f16 v8, v20, v12, v8
	;;#ASMEND
	;;#ASMSTART
	v_dot2_f32_f16 v6, v17, v13, v6
	;;#ASMEND
	;;#ASMSTART
	v_dot2_f32_f16 v6, v18, v14, v6
	;;#ASMEND
	;;#ASMSTART
	v_dot2_f32_f16 v6, v19, v15, v6
	;;#ASMEND
	;;#ASMSTART
	v_dot2_f32_f16 v6, v20, v16, v6
	;;#ASMEND
	ds_read_b128 v[1:4], v98 offset:16
	ds_read_b128 v[9:12], v93 offset:1040
	ds_read_b128 v[13:16], v93 offset:2192
	ds_read_b128 v[17:20], v98 offset:4624
	s_waitcnt lgkmcnt(2)
	;;#ASMSTART
	v_dot2_f32_f16 v7, v1, v9, v7
	;;#ASMEND
	;;#ASMSTART
	v_dot2_f32_f16 v7, v2, v10, v7
	;;#ASMEND
	;;#ASMSTART
	v_dot2_f32_f16 v7, v3, v11, v7
	;;#ASMEND
	;;#ASMSTART
	v_dot2_f32_f16 v7, v4, v12, v7
	;;#ASMEND
	s_waitcnt lgkmcnt(1)
	;;#ASMSTART
	v_dot2_f32_f16 v5, v1, v13, v5
	;;#ASMEND
	;;#ASMSTART
	v_dot2_f32_f16 v5, v2, v14, v5
	;;#ASMEND
	;;#ASMSTART
	v_dot2_f32_f16 v5, v3, v15, v5
	;;#ASMEND
	;;#ASMSTART
	v_dot2_f32_f16 v5, v4, v16, v5
	;;#ASMEND
	s_waitcnt lgkmcnt(0)
	;;#ASMSTART
	v_dot2_f32_f16 v8, v17, v9, v8
	;;#ASMEND
	;;#ASMSTART
	v_dot2_f32_f16 v8, v18, v10, v8
	;;#ASMEND
	;;#ASMSTART
	v_dot2_f32_f16 v8, v19, v11, v8
	;;#ASMEND
	;;#ASMSTART
	v_dot2_f32_f16 v8, v20, v12, v8
	;;#ASMEND
	;;#ASMSTART
	v_dot2_f32_f16 v6, v17, v13, v6
	;;#ASMEND
	;;#ASMSTART
	v_dot2_f32_f16 v6, v18, v14, v6
	;;#ASMEND
	;;#ASMSTART
	v_dot2_f32_f16 v6, v19, v15, v6
	;;#ASMEND
	;;#ASMSTART
	v_dot2_f32_f16 v6, v20, v16, v6
	;;#ASMEND
	ds_read_b128 v[1:4], v98 offset:32
	;; [unrolled: 55-line block ×7, first 2 shown]
	ds_read_b128 v[9:12], v93 offset:1136
	ds_read_b128 v[13:16], v93 offset:2288
	;; [unrolled: 1-line block ×3, first 2 shown]
	s_waitcnt lgkmcnt(2)
	;;#ASMSTART
	v_dot2_f32_f16 v7, v1, v9, v7
	;;#ASMEND
	;;#ASMSTART
	v_dot2_f32_f16 v7, v2, v10, v7
	;;#ASMEND
	;; [unrolled: 3-line block ×4, first 2 shown]
	s_waitcnt lgkmcnt(1)
	;;#ASMSTART
	v_dot2_f32_f16 v5, v1, v13, v5
	;;#ASMEND
	;;#ASMSTART
	v_dot2_f32_f16 v5, v2, v14, v5
	;;#ASMEND
	;; [unrolled: 3-line block ×4, first 2 shown]
	s_waitcnt lgkmcnt(0)
	;;#ASMSTART
	v_dot2_f32_f16 v8, v17, v9, v8
	;;#ASMEND
	v_cmp_ngt_f32_e64 s6, 0x3f200000, |v7|
	;;#ASMSTART
	v_dot2_f32_f16 v8, v18, v10, v8
	;;#ASMEND
	;;#ASMSTART
	v_dot2_f32_f16 v8, v19, v11, v8
	;;#ASMEND
	;; [unrolled: 3-line block ×7, first 2 shown]
                                        ; implicit-def: $vgpr9
	s_and_saveexec_b32 s7, s6
	s_xor_b32 s6, exec_lo, s7
	s_cbranch_execz .LBB24_15
; %bb.14:                               ;   in Loop: Header=BB24_13 Depth=1
	v_add_f32_e64 v1, |v7|, |v7|
	v_mul_f32_e32 v2, 0x3fb8aa3b, v1
	v_cmp_ngt_f32_e32 vcc_lo, 0xc2ce8ed0, v1
	v_rndne_f32_e32 v3, v2
	v_fma_f32 v4, 0x3fb8aa3b, v1, -v2
	v_sub_f32_e32 v2, v2, v3
	v_fmac_f32_e32 v4, 0x32a5705f, v1
	v_cvt_i32_f32_e32 v3, v3
	v_add_f32_e32 v2, v2, v4
	v_exp_f32_e32 v2, v2
	v_ldexp_f32 v2, v2, v3
	v_cndmask_b32_e32 v2, 0, v2, vcc_lo
	v_cmp_nlt_f32_e32 vcc_lo, 0x42b17218, v1
	v_cndmask_b32_e32 v1, 0x7f800000, v2, vcc_lo
	v_add_f32_e32 v1, 1.0, v1
	v_rcp_f32_e32 v1, v1
	v_fma_f32 v9, v1, -2.0, 1.0
.LBB24_15:                              ;   in Loop: Header=BB24_13 Depth=1
	s_andn2_saveexec_b32 s6, s6
	s_cbranch_execz .LBB24_17
; %bb.16:                               ;   in Loop: Header=BB24_13 Depth=1
	v_mul_f32_e32 v1, v7, v7
	v_fmaak_f32 v2, s12, v1, 0x3ca908c9
	v_fmaak_f32 v2, v1, v2, 0xbd5c1c4e
	;; [unrolled: 1-line block ×4, first 2 shown]
	v_mul_f32_e64 v2, |v7|, v2
	v_fma_f32 v9, v1, v2, |v7|
.LBB24_17:                              ;   in Loop: Header=BB24_13 Depth=1
	s_or_b32 exec_lo, exec_lo, s6
	v_add_nc_u32_e32 v1, s8, v82
	v_cmp_ngt_f32_e64 s6, 0x3f200000, |v8|
                                        ; implicit-def: $vgpr10
	v_ashrrev_i32_e32 v2, 31, v1
	v_lshlrev_b64 v[1:2], 1, v[1:2]
	v_add_co_u32 v1, vcc_lo, s34, v1
	v_add_co_ci_u32_e64 v2, null, s35, v2, vcc_lo
	global_load_ushort v3, v[1:2], off
	s_and_saveexec_b32 s7, s6
	s_xor_b32 s6, exec_lo, s7
	s_cbranch_execz .LBB24_19
; %bb.18:                               ;   in Loop: Header=BB24_13 Depth=1
	v_add_f32_e64 v4, |v8|, |v8|
	v_mul_f32_e32 v10, 0x3fb8aa3b, v4
	v_cmp_ngt_f32_e32 vcc_lo, 0xc2ce8ed0, v4
	v_rndne_f32_e32 v11, v10
	v_fma_f32 v12, 0x3fb8aa3b, v4, -v10
	v_sub_f32_e32 v10, v10, v11
	v_fmac_f32_e32 v12, 0x32a5705f, v4
	v_cvt_i32_f32_e32 v11, v11
	v_add_f32_e32 v10, v10, v12
	v_exp_f32_e32 v10, v10
	v_ldexp_f32 v10, v10, v11
	v_cndmask_b32_e32 v10, 0, v10, vcc_lo
	v_cmp_nlt_f32_e32 vcc_lo, 0x42b17218, v4
	v_cndmask_b32_e32 v4, 0x7f800000, v10, vcc_lo
	v_add_f32_e32 v4, 1.0, v4
	v_rcp_f32_e32 v4, v4
	v_fma_f32 v10, v4, -2.0, 1.0
.LBB24_19:                              ;   in Loop: Header=BB24_13 Depth=1
	s_andn2_saveexec_b32 s6, s6
	s_cbranch_execz .LBB24_21
; %bb.20:                               ;   in Loop: Header=BB24_13 Depth=1
	v_mul_f32_e32 v4, v8, v8
	v_fmaak_f32 v10, s12, v4, 0x3ca908c9
	v_fmaak_f32 v10, v4, v10, 0xbd5c1c4e
	;; [unrolled: 1-line block ×4, first 2 shown]
	v_mul_f32_e64 v10, |v8|, v10
	v_fma_f32 v10, v4, v10, |v8|
.LBB24_21:                              ;   in Loop: Header=BB24_13 Depth=1
	s_or_b32 exec_lo, exec_lo, s6
	global_load_ushort v4, v[1:2], off offset:64
	v_bfi_b32 v1, 0x7fffffff, v9, v7
	v_bfi_b32 v7, 0x7fffffff, v10, v8
	v_xor_b32_e32 v129, 16, v94
	v_xor_b32_e32 v125, 8, v94
	;; [unrolled: 1-line block ×3, first 2 shown]
	s_waitcnt vmcnt(1)
	v_fma_mix_f32 v2, s10, v1, v3 op_sel_hi:[0,0,1]
	v_xor_b32_e32 v127, 2, v94
	v_cmp_gt_i32_e32 vcc_lo, 32, v129
	v_xor_b32_e32 v128, 1, v94
	v_cmp_ngt_f32_e64 s6, 0x3f200000, |v5|
	v_add_f32_e32 v8, 0x40051340, v2
	s_waitcnt vmcnt(0)
	v_fma_mix_f32 v1, s10, v7, v4 op_sel_hi:[0,0,1]
	v_cndmask_b32_e32 v7, v94, v129, vcc_lo
	v_cmp_gt_i32_e32 vcc_lo, 32, v125
	v_add_f32_e32 v9, 0x40051340, v1
	v_lshlrev_b32_e32 v7, 2, v7
	v_cndmask_b32_e32 v10, v94, v125, vcc_lo
	v_cmp_gt_i32_e32 vcc_lo, 32, v126
	v_max3_f32 v9, v89, v8, v9
	ds_bpermute_b32 v8, v7, v9
	s_waitcnt lgkmcnt(0)
	v_max_f32_e32 v11, v8, v8
	v_lshlrev_b32_e32 v8, 2, v10
	v_max_f32_e32 v10, v9, v11
	v_cndmask_b32_e32 v11, v94, v126, vcc_lo
	v_cmp_gt_i32_e32 vcc_lo, 32, v127
	ds_bpermute_b32 v9, v8, v10
	s_waitcnt lgkmcnt(0)
	v_max_f32_e32 v12, v9, v9
	v_lshlrev_b32_e32 v9, 2, v11
	v_max_f32_e32 v11, v10, v12
	v_cndmask_b32_e32 v12, v94, v127, vcc_lo
	v_cmp_gt_i32_e32 vcc_lo, 32, v128
	ds_bpermute_b32 v10, v9, v11
	s_waitcnt lgkmcnt(0)
	v_max_f32_e32 v13, v10, v10
	v_lshlrev_b32_e32 v10, 2, v12
	v_max_f32_e32 v11, v11, v13
	v_cndmask_b32_e32 v13, v94, v128, vcc_lo
	ds_bpermute_b32 v12, v10, v11
	s_waitcnt lgkmcnt(0)
	v_max_f32_e32 v14, v12, v12
	v_lshlrev_b32_e32 v12, 2, v13
	v_max_f32_e32 v11, v11, v14
                                        ; implicit-def: $vgpr14
	ds_bpermute_b32 v13, v12, v11
	s_and_saveexec_b32 s7, s6
	s_xor_b32 s6, exec_lo, s7
	s_cbranch_execz .LBB24_23
; %bb.22:                               ;   in Loop: Header=BB24_13 Depth=1
	v_add_f32_e64 v14, |v5|, |v5|
	v_mul_f32_e32 v15, 0x3fb8aa3b, v14
	v_cmp_ngt_f32_e32 vcc_lo, 0xc2ce8ed0, v14
	v_rndne_f32_e32 v16, v15
	v_fma_f32 v17, 0x3fb8aa3b, v14, -v15
	v_sub_f32_e32 v15, v15, v16
	v_fmac_f32_e32 v17, 0x32a5705f, v14
	v_cvt_i32_f32_e32 v16, v16
	v_add_f32_e32 v15, v15, v17
	v_exp_f32_e32 v15, v15
	v_ldexp_f32 v15, v15, v16
	v_cndmask_b32_e32 v15, 0, v15, vcc_lo
	v_cmp_nlt_f32_e32 vcc_lo, 0x42b17218, v14
	v_cndmask_b32_e32 v14, 0x7f800000, v15, vcc_lo
	v_add_f32_e32 v14, 1.0, v14
	v_rcp_f32_e32 v14, v14
	v_fma_f32 v14, v14, -2.0, 1.0
.LBB24_23:                              ;   in Loop: Header=BB24_13 Depth=1
	s_andn2_saveexec_b32 s6, s6
	s_cbranch_execz .LBB24_25
; %bb.24:                               ;   in Loop: Header=BB24_13 Depth=1
	v_mul_f32_e32 v14, v5, v5
	v_fmaak_f32 v15, s12, v14, 0x3ca908c9
	v_fmaak_f32 v15, v14, v15, 0xbd5c1c4e
	;; [unrolled: 1-line block ×4, first 2 shown]
	v_mul_f32_e64 v15, |v5|, v15
	v_fma_f32 v14, v14, v15, |v5|
.LBB24_25:                              ;   in Loop: Header=BB24_13 Depth=1
	s_or_b32 exec_lo, exec_lo, s6
	v_cmp_ngt_f32_e64 s6, 0x3f200000, |v6|
                                        ; implicit-def: $vgpr15
	s_and_saveexec_b32 s7, s6
	s_xor_b32 s6, exec_lo, s7
	s_cbranch_execz .LBB24_27
; %bb.26:                               ;   in Loop: Header=BB24_13 Depth=1
	v_add_f32_e64 v15, |v6|, |v6|
	v_mul_f32_e32 v16, 0x3fb8aa3b, v15
	v_cmp_ngt_f32_e32 vcc_lo, 0xc2ce8ed0, v15
	v_rndne_f32_e32 v17, v16
	v_fma_f32 v18, 0x3fb8aa3b, v15, -v16
	v_sub_f32_e32 v16, v16, v17
	v_fmac_f32_e32 v18, 0x32a5705f, v15
	v_cvt_i32_f32_e32 v17, v17
	v_add_f32_e32 v16, v16, v18
	v_exp_f32_e32 v16, v16
	v_ldexp_f32 v16, v16, v17
	v_cndmask_b32_e32 v16, 0, v16, vcc_lo
	v_cmp_nlt_f32_e32 vcc_lo, 0x42b17218, v15
	v_cndmask_b32_e32 v15, 0x7f800000, v16, vcc_lo
	v_add_f32_e32 v15, 1.0, v15
	v_rcp_f32_e32 v15, v15
	v_fma_f32 v15, v15, -2.0, 1.0
.LBB24_27:                              ;   in Loop: Header=BB24_13 Depth=1
	s_andn2_saveexec_b32 s6, s6
	s_cbranch_execz .LBB24_29
; %bb.28:                               ;   in Loop: Header=BB24_13 Depth=1
	v_mul_f32_e32 v15, v6, v6
	v_fmaak_f32 v16, s12, v15, 0x3ca908c9
	v_fmaak_f32 v16, v15, v16, 0xbd5c1c4e
	;; [unrolled: 1-line block ×4, first 2 shown]
	v_mul_f32_e64 v16, |v6|, v16
	v_fma_f32 v15, v15, v16, |v6|
.LBB24_29:                              ;   in Loop: Header=BB24_13 Depth=1
	s_or_b32 exec_lo, exec_lo, s6
	s_mul_hi_i32 s7, s8, s9
	s_mul_i32 s6, s8, s9
	s_waitcnt lgkmcnt(0)
	s_lshl_b64 s[6:7], s[6:7], 2
	s_barrier
	v_add_co_u32 v20, vcc_lo, v103, s6
	v_add_co_ci_u32_e64 v21, null, s7, v104, vcc_lo
	buffer_gl0_inv
	v_cvt_f32_f16_e32 v3, v3
	s_clause 0x1
	global_load_dwordx4 v[16:19], v[20:21], off
	global_load_dwordx4 v[20:23], v[20:21], off offset:512
	v_cvt_f32_f16_e32 v4, v4
	v_bfi_b32 v5, 0x7fffffff, v14, v5
	v_bfi_b32 v6, 0x7fffffff, v15, v6
	s_or_b32 s6, s8, 8
	v_add_nc_u32_e32 v130, 0x800, v102
	s_mul_hi_i32 s7, s6, s9
	v_fmac_f32_e32 v3, s10, v5
	v_fmac_f32_e32 v4, s10, v6
	s_mul_i32 s6, s6, s9
	v_add_nc_u32_e32 v131, 0x1000, v102
	s_lshl_b64 s[6:7], s[6:7], 2
	v_add_f32_e32 v5, 0x40051340, v3
	v_add_f32_e32 v6, 0x40051340, v4
	v_add_nc_u32_e32 v132, 0x1800, v102
	v_max3_f32 v5, v90, v5, v6
	ds_bpermute_b32 v6, v7, v5
	v_max_f32_e32 v7, v13, v13
	s_waitcnt lgkmcnt(0)
	v_max_f32_e32 v6, v6, v6
	v_max_f32_e32 v5, v5, v6
	ds_bpermute_b32 v6, v8, v5
	v_max_f32_e32 v8, v11, v11
	v_max_f32_e32 v87, v8, v7
	v_add_nc_u32_e32 v8, v99, v91
	v_sub_f32_e32 v2, v2, v87
	v_sub_f32_e32 v1, v1, v87
	;; [unrolled: 1-line block ×3, first 2 shown]
	v_mul_f32_e32 v7, 0x3fb8aa3b, v2
	v_cmp_ngt_f32_e32 vcc_lo, 0xc2ce8ed0, v2
	v_mul_f32_e32 v135, 0x3fb8aa3b, v89
	s_waitcnt lgkmcnt(0)
	v_max_f32_e32 v6, v6, v6
	v_fma_f32 v136, 0x3fb8aa3b, v89, -v135
	v_rndne_f32_e32 v139, v135
	v_max_f32_e32 v5, v5, v6
	v_fmac_f32_e32 v136, 0x32a5705f, v89
	v_sub_f32_e32 v135, v135, v139
	ds_bpermute_b32 v6, v9, v5
	v_mul_f32_e32 v9, 0x3fb8aa3b, v1
	v_cvt_i32_f32_e32 v139, v139
	v_add_f32_e32 v135, v135, v136
	v_rndne_f32_e32 v11, v9
	v_exp_f32_e32 v135, v135
	v_ldexp_f32 v135, v135, v139
	s_waitcnt lgkmcnt(0)
	v_max_f32_e32 v6, v6, v6
	v_max_f32_e32 v5, v5, v6
	ds_bpermute_b32 v6, v10, v5
	v_fma_f32 v10, 0x3fb8aa3b, v1, -v9
	v_sub_f32_e32 v9, v9, v11
	v_cvt_i32_f32_e32 v11, v11
	v_fmac_f32_e32 v10, 0x32a5705f, v1
	v_add_f32_e32 v9, v9, v10
	v_exp_f32_e32 v9, v9
	s_waitcnt lgkmcnt(0)
	v_max_f32_e32 v6, v6, v6
	v_max_f32_e32 v5, v5, v6
	ds_bpermute_b32 v6, v12, v5
	s_waitcnt lgkmcnt(0)
	v_max_f32_e32 v6, v6, v6
	v_max_f32_e32 v88, v5, v6
	v_fma_f32 v5, 0x3fb8aa3b, v2, -v7
	v_rndne_f32_e32 v6, v7
	v_sub_f32_e32 v3, v3, v88
	v_fmac_f32_e32 v5, 0x32a5705f, v2
	v_sub_f32_e32 v7, v7, v6
	v_sub_f32_e32 v4, v4, v88
	v_cvt_i32_f32_e32 v6, v6
	v_mul_f32_e32 v12, 0x3fb8aa3b, v3
	v_sub_f32_e32 v90, v90, v88
	v_add_f32_e32 v5, v7, v5
	v_mul_f32_e32 v13, 0x3fb8aa3b, v4
	v_fma_f32 v7, 0x3fb8aa3b, v3, -v12
	v_rndne_f32_e32 v14, v12
	v_exp_f32_e32 v5, v5
	v_fma_f32 v15, 0x3fb8aa3b, v4, -v13
	v_rndne_f32_e32 v24, v13
	v_fmac_f32_e32 v7, 0x32a5705f, v3
	v_sub_f32_e32 v10, v12, v14
	v_mul_f32_e32 v140, 0x3fb8aa3b, v90
	v_fmac_f32_e32 v15, 0x32a5705f, v4
	v_sub_f32_e32 v12, v13, v24
	v_add_f32_e32 v7, v10, v7
	v_ldexp_f32 v5, v5, v6
	v_ldexp_f32 v6, v9, v11
	v_add_f32_e32 v10, v12, v15
	v_cvt_i32_f32_e32 v9, v14
	v_exp_f32_e32 v7, v7
	v_cndmask_b32_e32 v5, 0, v5, vcc_lo
	v_cmp_ngt_f32_e32 vcc_lo, 0xc2ce8ed0, v1
	v_exp_f32_e32 v10, v10
	v_cvt_i32_f32_e32 v11, v24
	v_fma_f32 v141, 0x3fb8aa3b, v90, -v140
	v_rndne_f32_e32 v142, v140
	v_cndmask_b32_e32 v6, 0, v6, vcc_lo
	v_cmp_nlt_f32_e32 vcc_lo, 0x42b17218, v2
	v_ldexp_f32 v7, v7, v9
	v_fmac_f32_e32 v141, 0x32a5705f, v90
	v_sub_f32_e32 v136, v140, v142
	v_cndmask_b32_e32 v137, 0x7f800000, v5, vcc_lo
	v_cmp_ngt_f32_e32 vcc_lo, 0xc2ce8ed0, v3
	v_ldexp_f32 v9, v10, v11
	v_cvt_i32_f32_e32 v139, v142
	v_add_f32_e32 v136, v136, v141
	v_cndmask_b32_e32 v2, 0, v7, vcc_lo
	v_cmp_ngt_f32_e32 vcc_lo, 0xc2ce8ed0, v4
	v_exp_f32_e32 v136, v136
	v_cndmask_b32_e32 v5, 0, v9, vcc_lo
	v_cmp_nlt_f32_e32 vcc_lo, 0x42b17218, v1
	v_cvt_f16_f32_e32 v1, v137
	v_cndmask_b32_e32 v138, 0x7f800000, v6, vcc_lo
	v_cmp_nlt_f32_e32 vcc_lo, 0x42b17218, v3
	v_ldexp_f32 v139, v136, v139
	v_cndmask_b32_e32 v133, 0x7f800000, v2, vcc_lo
	v_cmp_nlt_f32_e32 vcc_lo, 0x42b17218, v4
	v_cvt_f16_f32_e32 v2, v138
	v_cvt_f16_f32_e32 v3, v133
	v_cndmask_b32_e32 v134, 0x7f800000, v5, vcc_lo
	v_add_co_u32 v41, vcc_lo, v103, s6
	v_add_co_ci_u32_e64 v42, null, s7, v104, vcc_lo
	v_cvt_f16_f32_e32 v4, v134
	v_pack_b32_f16 v1, v1, v3
	v_cmp_ngt_f32_e32 vcc_lo, 0xc2ce8ed0, v89
	s_or_b32 s6, s8, 16
	v_pack_b32_f16 v2, v2, v4
	s_mul_hi_i32 s7, s6, s9
	v_cndmask_b32_e32 v135, 0, v135, vcc_lo
	v_cmp_nlt_f32_e32 vcc_lo, 0x42b17218, v89
	s_mul_i32 s6, s6, s9
	ds_write2_b32 v8, v1, v2 offset1:32
	s_waitcnt vmcnt(1)
	ds_write_b128 v100, v[16:19]
	s_waitcnt vmcnt(0)
	ds_write_b128 v101, v[20:23]
	s_waitcnt lgkmcnt(0)
	s_barrier
	buffer_gl0_inv
	ds_read2_b64 v[69:72], v102 offset1:32
	ds_read2_b64 v[73:76], v102 offset0:64 offset1:96
	ds_read_b128 v[77:80], v99
	ds_read_b128 v[29:32], v99 offset:16
	ds_read2_b64 v[61:64], v102 offset0:128 offset1:160
	ds_read2_b64 v[65:68], v102 offset0:192 offset1:224
	ds_read2_b64 v[53:56], v130 offset1:32
	ds_read2_b64 v[57:60], v130 offset0:64 offset1:96
	ds_read2_b64 v[45:48], v130 offset0:128 offset1:160
	ds_read2_b64 v[49:52], v130 offset0:192 offset1:224
	ds_read2_b64 v[25:28], v131 offset1:32
	ds_read2_b64 v[33:36], v131 offset0:64 offset1:96
	;; [unrolled: 4-line block ×3, first 2 shown]
	ds_read2_b64 v[1:4], v132 offset0:128 offset1:160
	ds_read2_b64 v[5:8], v132 offset0:192 offset1:224
	s_waitcnt lgkmcnt(0)
	s_barrier
	buffer_gl0_inv
	s_clause 0x1
	global_load_dwordx4 v[37:40], v[41:42], off
	global_load_dwordx4 v[41:44], v[41:42], off offset:512
	v_cndmask_b32_e32 v136, 0x7f800000, v135, vcc_lo
	v_cmp_ngt_f32_e32 vcc_lo, 0xc2ce8ed0, v90
	v_mul_u32_u24_sdwa v141, v77, v106 dst_sel:DWORD dst_unused:UNUSED_PAD src0_sel:WORD_0 src1_sel:DWORD
	v_mul_u32_u24_sdwa v77, v77, v106 dst_sel:DWORD dst_unused:UNUSED_PAD src0_sel:WORD_1 src1_sel:DWORD
	v_mul_u32_u24_sdwa v142, v78, v106 dst_sel:DWORD dst_unused:UNUSED_PAD src0_sel:WORD_0 src1_sel:DWORD
	v_cvt_f16_f32_e32 v89, v136
	v_cndmask_b32_e32 v135, 0, v139, vcc_lo
	v_cmp_nlt_f32_e32 vcc_lo, 0x42b17218, v90
	v_mul_u32_u24_sdwa v78, v78, v106 dst_sel:DWORD dst_unused:UNUSED_PAD src0_sel:WORD_1 src1_sel:DWORD
	v_mul_u32_u24_sdwa v143, v79, v106 dst_sel:DWORD dst_unused:UNUSED_PAD src0_sel:WORD_0 src1_sel:DWORD
	v_mul_u32_u24_sdwa v139, v89, v106 dst_sel:DWORD dst_unused:UNUSED_PAD src0_sel:WORD_0 src1_sel:DWORD
	v_mul_u32_u24_sdwa v79, v79, v106 dst_sel:DWORD dst_unused:UNUSED_PAD src0_sel:WORD_1 src1_sel:DWORD
	v_cndmask_b32_e32 v135, 0x7f800000, v135, vcc_lo
	s_lshl_b64 s[6:7], s[6:7], 2
	v_mul_u32_u24_sdwa v144, v80, v106 dst_sel:DWORD dst_unused:UNUSED_PAD src0_sel:WORD_0 src1_sel:DWORD
	v_pk_mul_f16 v119, v119, v139
	v_pk_mul_f16 v121, v121, v139
	v_cvt_f16_f32_e32 v140, v135
	v_pk_mul_f16 v124, v124, v139
	v_pk_mul_f16 v122, v122, v139
	v_pk_mul_f16 v123, v123, v139
	v_pk_mul_f16 v117, v117, v139
	v_mul_u32_u24_sdwa v140, v140, v106 dst_sel:DWORD dst_unused:UNUSED_PAD src0_sel:WORD_0 src1_sel:DWORD
	v_pk_mul_f16 v118, v118, v139
	v_pk_fma_f16 v119, v73, v141, v119
	v_add_co_u32 v89, vcc_lo, v103, s6
	v_pk_mul_f16 v111, v111, v140
	v_pk_mul_f16 v116, v116, v140
	;; [unrolled: 1-line block ×7, first 2 shown]
	v_pk_fma_f16 v73, v73, v77, v111
	v_pk_fma_f16 v111, v74, v141, v121
	v_pk_mul_f16 v121, v69, v141
	v_pk_mul_f16 v69, v69, v77
	v_pk_fma_f16 v74, v74, v77, v112
	v_pk_fma_f16 v112, v75, v141, v117
	;; [unrolled: 1-line block ×29, first 2 shown]
	v_add_co_ci_u32_e64 v90, null, s7, v104, vcc_lo
	v_mul_u32_u24_sdwa v80, v80, v106 dst_sel:DWORD dst_unused:UNUSED_PAD src0_sel:WORD_1 src1_sel:DWORD
	v_pk_fma_f16 v69, v54, v143, v109
	v_pk_fma_f16 v54, v54, v79, v62
	;; [unrolled: 1-line block ×32, first 2 shown]
	v_mul_u32_u24_sdwa v175, v29, v106 dst_sel:DWORD dst_unused:UNUSED_PAD src0_sel:WORD_0 src1_sel:DWORD
	v_mul_u32_u24_sdwa v29, v29, v106 dst_sel:DWORD dst_unused:UNUSED_PAD src0_sel:WORD_1 src1_sel:DWORD
	v_mul_u32_u24_sdwa v176, v30, v106 dst_sel:DWORD dst_unused:UNUSED_PAD src0_sel:WORD_0 src1_sel:DWORD
	v_mul_u32_u24_sdwa v30, v30, v106 dst_sel:DWORD dst_unused:UNUSED_PAD src0_sel:WORD_1 src1_sel:DWORD
	s_or_b32 s6, s8, 24
	v_pk_fma_f16 v165, v33, v175, v165
	v_pk_fma_f16 v33, v33, v29, v166
	;; [unrolled: 1-line block ×16, first 2 shown]
	v_mul_u32_u24_sdwa v169, v31, v106 dst_sel:DWORD dst_unused:UNUSED_PAD src0_sel:WORD_0 src1_sel:DWORD
	v_mul_u32_u24_sdwa v31, v31, v106 dst_sel:DWORD dst_unused:UNUSED_PAD src0_sel:WORD_1 src1_sel:DWORD
	v_pk_fma_f16 v29, v18, v176, v159
	v_pk_fma_f16 v18, v18, v30, v26
	;; [unrolled: 1-line block ×16, first 2 shown]
	v_mul_u32_u24_sdwa v170, v32, v106 dst_sel:DWORD dst_unused:UNUSED_PAD src0_sel:WORD_0 src1_sel:DWORD
	v_mul_u32_u24_sdwa v32, v32, v106 dst_sel:DWORD dst_unused:UNUSED_PAD src0_sel:WORD_1 src1_sel:DWORD
	v_pk_fma_f16 v25, v13, v169, v28
	v_pk_fma_f16 v13, v13, v31, v21
	;; [unrolled: 1-line block ×32, first 2 shown]
	s_mul_hi_i32 s7, s6, s9
	s_mul_i32 s6, s6, s9
	s_waitcnt vmcnt(1)
	ds_write_b128 v100, v[37:40]
	s_waitcnt vmcnt(0)
	ds_write_b128 v101, v[41:44]
	s_waitcnt lgkmcnt(0)
	s_barrier
	buffer_gl0_inv
	ds_read2_b64 v[37:40], v102 offset1:32
	ds_read2_b64 v[41:44], v102 offset0:64 offset1:96
	ds_read_b128 v[45:48], v99 offset:32
	ds_read_b128 v[49:52], v99 offset:48
	ds_read2_b64 v[53:56], v102 offset0:128 offset1:160
	ds_read2_b64 v[57:60], v102 offset0:192 offset1:224
	ds_read2_b64 v[61:64], v130 offset1:32
	ds_read2_b64 v[65:68], v130 offset0:64 offset1:96
	ds_read2_b64 v[69:72], v130 offset0:128 offset1:160
	ds_read2_b64 v[73:76], v130 offset0:192 offset1:224
	ds_read2_b64 v[77:80], v131 offset1:32
	ds_read2_b64 v[109:112], v131 offset0:64 offset1:96
	;; [unrolled: 4-line block ×3, first 2 shown]
	ds_read2_b64 v[143:146], v132 offset0:128 offset1:160
	ds_read2_b64 v[147:150], v132 offset0:192 offset1:224
	s_waitcnt lgkmcnt(0)
	s_barrier
	buffer_gl0_inv
	s_clause 0x1
	global_load_dwordx4 v[151:154], v[89:90], off
	global_load_dwordx4 v[155:158], v[89:90], off offset:512
	v_mul_u32_u24_sdwa v9, v45, v106 dst_sel:DWORD dst_unused:UNUSED_PAD src0_sel:WORD_0 src1_sel:DWORD
	v_mul_u32_u24_sdwa v18, v45, v106 dst_sel:DWORD dst_unused:UNUSED_PAD src0_sel:WORD_1 src1_sel:DWORD
	v_mul_u32_u24_sdwa v19, v46, v106 dst_sel:DWORD dst_unused:UNUSED_PAD src0_sel:WORD_0 src1_sel:DWORD
	v_mul_u32_u24_sdwa v20, v46, v106 dst_sel:DWORD dst_unused:UNUSED_PAD src0_sel:WORD_1 src1_sel:DWORD
	v_mul_u32_u24_sdwa v21, v47, v106 dst_sel:DWORD dst_unused:UNUSED_PAD src0_sel:WORD_0 src1_sel:DWORD
	v_pk_fma_f16 v12, v37, v9, v12
	v_pk_fma_f16 v1, v37, v18, v1
	;; [unrolled: 1-line block ×16, first 2 shown]
	v_mul_u32_u24_sdwa v22, v47, v106 dst_sel:DWORD dst_unused:UNUSED_PAD src0_sel:WORD_1 src1_sel:DWORD
	v_pk_fma_f16 v12, v53, v19, v12
	v_pk_fma_f16 v1, v53, v20, v1
	;; [unrolled: 1-line block ×16, first 2 shown]
	s_lshl_b64 s[6:7], s[6:7], 2
	v_mul_u32_u24_sdwa v23, v48, v106 dst_sel:DWORD dst_unused:UNUSED_PAD src0_sel:WORD_0 src1_sel:DWORD
	v_add_co_u32 v89, vcc_lo, v103, s6
	v_add_co_ci_u32_e64 v90, null, s7, v104, vcc_lo
	v_mul_u32_u24_sdwa v24, v48, v106 dst_sel:DWORD dst_unused:UNUSED_PAD src0_sel:WORD_1 src1_sel:DWORD
	v_pk_fma_f16 v12, v61, v21, v12
	v_pk_fma_f16 v1, v61, v22, v1
	;; [unrolled: 1-line block ×32, first 2 shown]
	s_or_b32 s6, s8, 32
	s_waitcnt vmcnt(1)
	ds_write_b128 v100, v[151:154]
	s_waitcnt vmcnt(0)
	ds_write_b128 v101, v[155:158]
	s_waitcnt lgkmcnt(0)
	s_barrier
	buffer_gl0_inv
	ds_read2_b64 v[1:4], v102 offset1:32
	ds_read2_b64 v[5:8], v102 offset0:64 offset1:96
	ds_read_b128 v[9:12], v99 offset:64
	ds_read_b128 v[13:16], v99 offset:80
	ds_read2_b64 v[17:20], v102 offset0:128 offset1:160
	ds_read2_b64 v[21:24], v102 offset0:192 offset1:224
	ds_read2_b64 v[25:28], v130 offset1:32
	ds_read2_b64 v[29:32], v130 offset0:64 offset1:96
	ds_read2_b64 v[33:36], v130 offset0:128 offset1:160
	ds_read2_b64 v[37:40], v130 offset0:192 offset1:224
	ds_read2_b64 v[41:44], v131 offset1:32
	ds_read2_b64 v[45:48], v131 offset0:64 offset1:96
	;; [unrolled: 4-line block ×3, first 2 shown]
	ds_read2_b64 v[69:72], v132 offset0:128 offset1:160
	ds_read2_b64 v[73:76], v132 offset0:192 offset1:224
	s_waitcnt lgkmcnt(0)
	s_barrier
	buffer_gl0_inv
	s_clause 0x1
	global_load_dwordx4 v[151:154], v[89:90], off
	global_load_dwordx4 v[155:158], v[89:90], off offset:512
	v_mul_u32_u24_sdwa v89, v49, v106 dst_sel:DWORD dst_unused:UNUSED_PAD src0_sel:WORD_0 src1_sel:DWORD
	v_mul_u32_u24_sdwa v49, v49, v106 dst_sel:DWORD dst_unused:UNUSED_PAD src0_sel:WORD_1 src1_sel:DWORD
	v_mul_u32_u24_sdwa v90, v50, v106 dst_sel:DWORD dst_unused:UNUSED_PAD src0_sel:WORD_0 src1_sel:DWORD
	v_mul_u32_u24_sdwa v50, v50, v106 dst_sel:DWORD dst_unused:UNUSED_PAD src0_sel:WORD_1 src1_sel:DWORD
	s_mul_hi_i32 s7, s6, s9
	v_pk_fma_f16 v159, v77, v89, v159
	v_pk_fma_f16 v160, v77, v49, v160
	;; [unrolled: 1-line block ×16, first 2 shown]
	v_mul_u32_u24_sdwa v165, v51, v106 dst_sel:DWORD dst_unused:UNUSED_PAD src0_sel:WORD_0 src1_sel:DWORD
	v_mul_u32_u24_sdwa v51, v51, v106 dst_sel:DWORD dst_unused:UNUSED_PAD src0_sel:WORD_1 src1_sel:DWORD
	v_pk_fma_f16 v112, v113, v90, v159
	v_pk_fma_f16 v113, v113, v50, v160
	v_pk_fma_f16 v159, v114, v90, v161
	v_pk_fma_f16 v114, v114, v50, v162
	v_pk_fma_f16 v160, v115, v90, v163
	v_pk_fma_f16 v79, v115, v50, v79
	v_pk_fma_f16 v115, v116, v90, v164
	v_pk_fma_f16 v80, v116, v50, v80
	v_pk_fma_f16 v116, v117, v90, v167
	v_pk_fma_f16 v109, v117, v50, v109
	v_pk_fma_f16 v117, v118, v90, v168
	v_pk_fma_f16 v110, v118, v50, v110
	v_pk_fma_f16 v118, v119, v90, v169
	v_pk_fma_f16 v111, v119, v50, v111
	v_pk_fma_f16 v89, v120, v90, v89
	v_pk_fma_f16 v49, v120, v50, v49
	v_mul_u32_u24_sdwa v166, v52, v106 dst_sel:DWORD dst_unused:UNUSED_PAD src0_sel:WORD_0 src1_sel:DWORD
	v_mul_u32_u24_sdwa v52, v52, v106 dst_sel:DWORD dst_unused:UNUSED_PAD src0_sel:WORD_1 src1_sel:DWORD
	v_pk_fma_f16 v50, v121, v165, v112
	v_pk_fma_f16 v90, v121, v51, v113
	;; [unrolled: 1-line block ×32, first 2 shown]
	v_mul_u32_u24_sdwa v52, v9, v106 dst_sel:DWORD dst_unused:UNUSED_PAD src0_sel:WORD_0 src1_sel:DWORD
	v_mul_u32_u24_sdwa v9, v9, v106 dst_sel:DWORD dst_unused:UNUSED_PAD src0_sel:WORD_1 src1_sel:DWORD
	v_mul_u32_u24_sdwa v118, v10, v106 dst_sel:DWORD dst_unused:UNUSED_PAD src0_sel:WORD_0 src1_sel:DWORD
	v_mul_u32_u24_sdwa v10, v10, v106 dst_sel:DWORD dst_unused:UNUSED_PAD src0_sel:WORD_1 src1_sel:DWORD
	s_mul_i32 s6, s6, s9
	v_pk_fma_f16 v50, v1, v52, v50
	v_pk_fma_f16 v1, v1, v9, v51
	;; [unrolled: 1-line block ×16, first 2 shown]
	v_mul_u32_u24_sdwa v119, v11, v106 dst_sel:DWORD dst_unused:UNUSED_PAD src0_sel:WORD_0 src1_sel:DWORD
	v_mul_u32_u24_sdwa v11, v11, v106 dst_sel:DWORD dst_unused:UNUSED_PAD src0_sel:WORD_1 src1_sel:DWORD
	v_pk_fma_f16 v9, v17, v118, v50
	v_pk_fma_f16 v1, v17, v10, v1
	;; [unrolled: 1-line block ×16, first 2 shown]
	s_lshl_b64 s[6:7], s[6:7], 2
	v_mul_u32_u24_sdwa v120, v12, v106 dst_sel:DWORD dst_unused:UNUSED_PAD src0_sel:WORD_0 src1_sel:DWORD
	v_add_co_u32 v77, vcc_lo, v103, s6
	v_add_co_ci_u32_e64 v78, null, s7, v104, vcc_lo
	v_mul_u32_u24_sdwa v12, v12, v106 dst_sel:DWORD dst_unused:UNUSED_PAD src0_sel:WORD_1 src1_sel:DWORD
	v_pk_fma_f16 v9, v25, v119, v9
	v_pk_fma_f16 v1, v25, v11, v1
	;; [unrolled: 1-line block ×32, first 2 shown]
	v_mul_u32_u24_sdwa v175, v13, v106 dst_sel:DWORD dst_unused:UNUSED_PAD src0_sel:WORD_0 src1_sel:DWORD
	v_mul_u32_u24_sdwa v13, v13, v106 dst_sel:DWORD dst_unused:UNUSED_PAD src0_sel:WORD_1 src1_sel:DWORD
	v_mul_u32_u24_sdwa v176, v14, v106 dst_sel:DWORD dst_unused:UNUSED_PAD src0_sel:WORD_0 src1_sel:DWORD
	v_mul_u32_u24_sdwa v14, v14, v106 dst_sel:DWORD dst_unused:UNUSED_PAD src0_sel:WORD_1 src1_sel:DWORD
	s_or_b32 s6, s8, 40
	v_pk_fma_f16 v177, v41, v175, v79
	v_pk_fma_f16 v41, v41, v13, v80
	;; [unrolled: 1-line block ×11, first 2 shown]
	v_mul_u32_u24_sdwa v163, v15, v106 dst_sel:DWORD dst_unused:UNUSED_PAD src0_sel:WORD_0 src1_sel:DWORD
	v_mul_u32_u24_sdwa v15, v15, v106 dst_sel:DWORD dst_unused:UNUSED_PAD src0_sel:WORD_1 src1_sel:DWORD
	v_pk_fma_f16 v41, v53, v14, v41
	v_pk_fma_f16 v42, v54, v14, v42
	;; [unrolled: 1-line block ×5, first 2 shown]
	v_mul_u32_u24_sdwa v164, v16, v106 dst_sel:DWORD dst_unused:UNUSED_PAD src0_sel:WORD_0 src1_sel:DWORD
	v_mul_u32_u24_sdwa v16, v16, v106 dst_sel:DWORD dst_unused:UNUSED_PAD src0_sel:WORD_1 src1_sel:DWORD
	v_pk_fma_f16 v41, v61, v15, v41
	v_pk_fma_f16 v42, v62, v15, v42
	;; [unrolled: 1-line block ×5, first 2 shown]
	s_mul_hi_i32 s7, s6, s9
	v_pk_fma_f16 v42, v70, v16, v42
	v_pk_fma_f16 v43, v71, v16, v43
	;; [unrolled: 1-line block ×4, first 2 shown]
	s_mul_i32 s6, s6, s9
	s_waitcnt vmcnt(1)
	ds_write_b128 v100, v[151:154]
	s_waitcnt vmcnt(0)
	ds_write_b128 v101, v[155:158]
	s_waitcnt lgkmcnt(0)
	s_barrier
	buffer_gl0_inv
	ds_read2_b64 v[1:4], v102 offset1:32
	ds_read2_b64 v[5:8], v102 offset0:64 offset1:96
	ds_read_b128 v[9:12], v99 offset:96
	ds_read_b128 v[17:20], v99 offset:112
	ds_read2_b64 v[21:24], v102 offset0:128 offset1:160
	ds_read2_b64 v[25:28], v102 offset0:192 offset1:224
	ds_read2_b64 v[29:32], v130 offset1:32
	ds_read2_b64 v[33:36], v130 offset0:64 offset1:96
	ds_read2_b64 v[37:40], v130 offset0:128 offset1:160
	ds_read2_b64 v[49:52], v130 offset0:192 offset1:224
	ds_read2_b64 v[109:112], v131 offset1:32
	ds_read2_b64 v[113:116], v131 offset0:64 offset1:96
	;; [unrolled: 4-line block ×3, first 2 shown]
	ds_read2_b64 v[147:150], v132 offset0:128 offset1:160
	ds_read2_b64 v[151:154], v132 offset0:192 offset1:224
	s_waitcnt lgkmcnt(0)
	s_barrier
	buffer_gl0_inv
	s_clause 0x1
	global_load_dwordx4 v[155:158], v[77:78], off
	global_load_dwordx4 v[159:162], v[77:78], off offset:512
	v_add_f32_e32 v77, v137, v138
	v_pk_fma_f16 v137, v45, v175, v167
	v_pk_fma_f16 v45, v45, v13, v168
	;; [unrolled: 1-line block ×39, first 2 shown]
	v_mul_u32_u24_sdwa v16, v9, v106 dst_sel:DWORD dst_unused:UNUSED_PAD src0_sel:WORD_0 src1_sel:DWORD
	v_mul_u32_u24_sdwa v9, v9, v106 dst_sel:DWORD dst_unused:UNUSED_PAD src0_sel:WORD_1 src1_sel:DWORD
	v_mul_u32_u24_sdwa v58, v10, v106 dst_sel:DWORD dst_unused:UNUSED_PAD src0_sel:WORD_0 src1_sel:DWORD
	v_mul_u32_u24_sdwa v10, v10, v106 dst_sel:DWORD dst_unused:UNUSED_PAD src0_sel:WORD_1 src1_sel:DWORD
	;; [unrolled: 2-line block ×6, first 2 shown]
	v_pk_fma_f16 v14, v1, v16, v14
	v_pk_fma_f16 v1, v1, v9, v15
	;; [unrolled: 1-line block ×16, first 2 shown]
	v_mul_u32_u24_sdwa v59, v11, v106 dst_sel:DWORD dst_unused:UNUSED_PAD src0_sel:WORD_0 src1_sel:DWORD
	v_mul_u32_u24_sdwa v11, v11, v106 dst_sel:DWORD dst_unused:UNUSED_PAD src0_sel:WORD_1 src1_sel:DWORD
	v_pk_fma_f16 v9, v21, v58, v14
	v_pk_fma_f16 v1, v21, v10, v1
	;; [unrolled: 1-line block ×16, first 2 shown]
	s_lshl_b64 s[6:7], s[6:7], 2
	v_mul_u32_u24_sdwa v60, v12, v106 dst_sel:DWORD dst_unused:UNUSED_PAD src0_sel:WORD_0 src1_sel:DWORD
	v_add_co_u32 v78, vcc_lo, v103, s6
	v_add_co_ci_u32_e64 v79, null, s7, v104, vcc_lo
	v_mul_u32_u24_sdwa v12, v12, v106 dst_sel:DWORD dst_unused:UNUSED_PAD src0_sel:WORD_1 src1_sel:DWORD
	v_pk_fma_f16 v9, v29, v59, v9
	v_pk_fma_f16 v1, v29, v11, v1
	;; [unrolled: 1-line block ×32, first 2 shown]
	v_fmac_f32_e32 v77, v108, v136
	v_pk_fma_f16 v108, v109, v80, v166
	v_pk_fma_f16 v109, v109, v89, v167
	;; [unrolled: 1-line block ×9, first 2 shown]
	s_or_b32 s6, s8, 48
	v_pk_fma_f16 v115, v123, v137, v115
	s_mul_hi_i32 s7, s6, s9
	s_mul_i32 s6, s6, s9
	v_pk_fma_f16 v110, v140, v163, v110
	s_lshl_b64 s[6:7], s[6:7], 2
	v_pk_fma_f16 v115, v145, v163, v115
	s_waitcnt vmcnt(1)
	ds_write_b128 v100, v[155:158]
	s_waitcnt vmcnt(0)
	ds_write_b128 v101, v[159:162]
	s_waitcnt lgkmcnt(0)
	s_barrier
	buffer_gl0_inv
	ds_read2_b64 v[29:32], v102 offset1:32
	ds_read2_b64 v[41:44], v102 offset0:64 offset1:96
	ds_read_b128 v[45:48], v99 offset:128
	ds_read_b128 v[37:40], v99 offset:144
	ds_read2_b64 v[53:56], v102 offset0:128 offset1:160
	ds_read2_b64 v[57:60], v102 offset0:192 offset1:224
	ds_read2_b64 v[61:64], v130 offset1:32
	ds_read2_b64 v[65:68], v130 offset0:64 offset1:96
	ds_read2_b64 v[69:72], v130 offset0:128 offset1:160
	ds_read2_b64 v[49:52], v130 offset0:192 offset1:224
	ds_read2_b64 v[33:36], v131 offset1:32
	ds_read2_b64 v[25:28], v131 offset0:64 offset1:96
	;; [unrolled: 4-line block ×3, first 2 shown]
	ds_read2_b64 v[5:8], v132 offset0:128 offset1:160
	ds_read2_b64 v[1:4], v132 offset0:192 offset1:224
	s_waitcnt lgkmcnt(0)
	s_barrier
	buffer_gl0_inv
	s_clause 0x1
	global_load_dwordx4 v[73:76], v[78:79], off
	global_load_dwordx4 v[155:158], v[78:79], off offset:512
	v_pk_fma_f16 v159, v111, v80, v170
	v_pk_fma_f16 v111, v111, v89, v171
	;; [unrolled: 1-line block ×44, first 2 shown]
	v_mul_u32_u24_sdwa v121, v45, v106 dst_sel:DWORD dst_unused:UNUSED_PAD src0_sel:WORD_0 src1_sel:DWORD
	v_mul_u32_u24_sdwa v45, v45, v106 dst_sel:DWORD dst_unused:UNUSED_PAD src0_sel:WORD_1 src1_sel:DWORD
	v_pk_fma_f16 v118, v151, v164, v118
	v_pk_fma_f16 v113, v151, v165, v113
	;; [unrolled: 1-line block ×8, first 2 shown]
	v_mul_u32_u24_sdwa v122, v46, v106 dst_sel:DWORD dst_unused:UNUSED_PAD src0_sel:WORD_0 src1_sel:DWORD
	v_mul_u32_u24_sdwa v46, v46, v106 dst_sel:DWORD dst_unused:UNUSED_PAD src0_sel:WORD_1 src1_sel:DWORD
	v_mul_u32_u24_sdwa v124, v48, v106 dst_sel:DWORD dst_unused:UNUSED_PAD src0_sel:WORD_0 src1_sel:DWORD
	v_mul_u32_u24_sdwa v164, v48, v106 dst_sel:DWORD dst_unused:UNUSED_PAD src0_sel:WORD_1 src1_sel:DWORD
	v_pk_fma_f16 v48, v29, v121, v90
	v_pk_fma_f16 v29, v29, v45, v108
	;; [unrolled: 1-line block ×8, first 2 shown]
	v_mul_u32_u24_sdwa v123, v47, v106 dst_sel:DWORD dst_unused:UNUSED_PAD src0_sel:WORD_0 src1_sel:DWORD
	v_mul_u32_u24_sdwa v47, v47, v106 dst_sel:DWORD dst_unused:UNUSED_PAD src0_sel:WORD_1 src1_sel:DWORD
	v_pk_fma_f16 v110, v41, v121, v118
	v_pk_fma_f16 v41, v41, v45, v113
	v_pk_fma_f16 v111, v42, v121, v119
	v_pk_fma_f16 v42, v42, v45, v114
	v_pk_fma_f16 v112, v43, v121, v120
	v_pk_fma_f16 v43, v43, v45, v115
	v_pk_fma_f16 v80, v44, v121, v80
	v_pk_fma_f16 v44, v44, v45, v89
	v_pk_fma_f16 v45, v53, v122, v48
	v_pk_fma_f16 v29, v53, v46, v29
	v_pk_fma_f16 v48, v54, v122, v90
	v_pk_fma_f16 v30, v54, v46, v30
	v_pk_fma_f16 v53, v55, v122, v108
	v_pk_fma_f16 v31, v55, v46, v31
	v_pk_fma_f16 v54, v56, v122, v109
	v_pk_fma_f16 v32, v56, v46, v32
	v_add_co_u32 v78, vcc_lo, v103, s6
	v_add_co_ci_u32_e64 v79, null, s7, v104, vcc_lo
	v_pk_fma_f16 v55, v57, v122, v110
	v_pk_fma_f16 v41, v57, v46, v41
	;; [unrolled: 1-line block ×34, first 2 shown]
	v_mul_u32_u24_sdwa v90, v38, v106 dst_sel:DWORD dst_unused:UNUSED_PAD src0_sel:WORD_0 src1_sel:DWORD
	v_mul_u32_u24_sdwa v38, v38, v106 dst_sel:DWORD dst_unused:UNUSED_PAD src0_sel:WORD_1 src1_sel:DWORD
	s_or_b32 s6, s8, 56
	s_waitcnt vmcnt(1)
	ds_write_b128 v100, v[73:76]
	s_waitcnt vmcnt(0)
	ds_write_b128 v101, v[155:158]
	s_waitcnt lgkmcnt(0)
	s_barrier
	buffer_gl0_inv
	ds_read2_b64 v[108:111], v102 offset1:32
	ds_read2_b64 v[112:115], v102 offset0:64 offset1:96
	ds_read_b128 v[116:119], v99 offset:160
	ds_read_b128 v[120:123], v99 offset:176
	ds_read2_b64 v[136:139], v102 offset0:128 offset1:160
	ds_read2_b64 v[140:143], v102 offset0:192 offset1:224
	ds_read2_b64 v[144:147], v130 offset1:32
	ds_read2_b64 v[148:151], v130 offset0:64 offset1:96
	ds_read2_b64 v[152:155], v130 offset0:128 offset1:160
	ds_read2_b64 v[73:76], v130 offset0:192 offset1:224
	ds_read2_b64 v[69:72], v131 offset1:32
	ds_read2_b64 v[65:68], v131 offset0:64 offset1:96
	;; [unrolled: 4-line block ×3, first 2 shown]
	ds_read2_b64 v[41:44], v132 offset0:128 offset1:160
	ds_read2_b64 v[29:32], v132 offset0:192 offset1:224
	s_waitcnt lgkmcnt(0)
	s_barrier
	buffer_gl0_inv
	s_clause 0x1
	global_load_dwordx4 v[156:159], v[78:79], off
	global_load_dwordx4 v[160:163], v[78:79], off offset:512
	v_add_f32_e32 v78, v133, v134
	v_pk_fma_f16 v133, v50, v124, v165
	v_pk_fma_f16 v134, v51, v124, v167
	;; [unrolled: 1-line block ×4, first 2 shown]
	v_fmac_f32_e32 v78, v107, v135
	v_mul_u32_u24_sdwa v107, v37, v106 dst_sel:DWORD dst_unused:UNUSED_PAD src0_sel:WORD_0 src1_sel:DWORD
	v_mul_u32_u24_sdwa v37, v37, v106 dst_sel:DWORD dst_unused:UNUSED_PAD src0_sel:WORD_1 src1_sel:DWORD
	v_pk_fma_f16 v51, v51, v164, v168
	v_pk_fma_f16 v52, v52, v164, v170
	v_mul_u32_u24_sdwa v135, v39, v106 dst_sel:DWORD dst_unused:UNUSED_PAD src0_sel:WORD_0 src1_sel:DWORD
	v_pk_fma_f16 v165, v33, v107, v171
	v_pk_fma_f16 v33, v33, v37, v172
	;; [unrolled: 1-line block ×16, first 2 shown]
	v_mul_u32_u24_sdwa v39, v39, v106 dst_sel:DWORD dst_unused:UNUSED_PAD src0_sel:WORD_1 src1_sel:DWORD
	v_pk_fma_f16 v37, v21, v90, v165
	v_pk_fma_f16 v21, v21, v38, v33
	;; [unrolled: 1-line block ×16, first 2 shown]
	v_mul_u32_u24_sdwa v164, v40, v106 dst_sel:DWORD dst_unused:UNUSED_PAD src0_sel:WORD_0 src1_sel:DWORD
	v_mul_u32_u24_sdwa v40, v40, v106 dst_sel:DWORD dst_unused:UNUSED_PAD src0_sel:WORD_1 src1_sel:DWORD
	v_pk_fma_f16 v28, v13, v135, v37
	v_pk_fma_f16 v13, v13, v39, v21
	;; [unrolled: 1-line block ×32, first 2 shown]
	v_mul_u32_u24_sdwa v12, v116, v106 dst_sel:DWORD dst_unused:UNUSED_PAD src0_sel:WORD_0 src1_sel:DWORD
	v_mul_u32_u24_sdwa v17, v116, v106 dst_sel:DWORD dst_unused:UNUSED_PAD src0_sel:WORD_1 src1_sel:DWORD
	v_mul_u32_u24_sdwa v18, v117, v106 dst_sel:DWORD dst_unused:UNUSED_PAD src0_sel:WORD_0 src1_sel:DWORD
	v_mul_u32_u24_sdwa v19, v117, v106 dst_sel:DWORD dst_unused:UNUSED_PAD src0_sel:WORD_1 src1_sel:DWORD
	s_mul_hi_i32 s7, s6, s9
	v_pk_fma_f16 v20, v108, v12, v20
	v_pk_fma_f16 v5, v108, v17, v5
	;; [unrolled: 1-line block ×15, first 2 shown]
	s_mul_i32 s6, s6, s9
	v_mul_u32_u24_sdwa v21, v118, v106 dst_sel:DWORD dst_unused:UNUSED_PAD src0_sel:WORD_0 src1_sel:DWORD
	v_mul_u32_u24_sdwa v22, v118, v106 dst_sel:DWORD dst_unused:UNUSED_PAD src0_sel:WORD_1 src1_sel:DWORD
	v_pk_fma_f16 v4, v115, v17, v4
	v_pk_fma_f16 v12, v136, v18, v20
	;; [unrolled: 1-line block ×16, first 2 shown]
	s_lshl_b64 s[6:7], s[6:7], 2
	v_mul_u32_u24_sdwa v23, v119, v106 dst_sel:DWORD dst_unused:UNUSED_PAD src0_sel:WORD_0 src1_sel:DWORD
	v_add_co_u32 v79, vcc_lo, v103, s6
	v_add_co_ci_u32_e64 v80, null, s7, v104, vcc_lo
	v_mul_u32_u24_sdwa v89, v119, v106 dst_sel:DWORD dst_unused:UNUSED_PAD src0_sel:WORD_1 src1_sel:DWORD
	v_pk_fma_f16 v4, v143, v19, v4
	v_pk_fma_f16 v12, v144, v21, v12
	;; [unrolled: 1-line block ×16, first 2 shown]
	v_mul_u32_u24_sdwa v90, v120, v106 dst_sel:DWORD dst_unused:UNUSED_PAD src0_sel:WORD_0 src1_sel:DWORD
	v_mul_u32_u24_sdwa v124, v120, v106 dst_sel:DWORD dst_unused:UNUSED_PAD src0_sel:WORD_1 src1_sel:DWORD
	v_mul_u32_u24_sdwa v164, v121, v106 dst_sel:DWORD dst_unused:UNUSED_PAD src0_sel:WORD_0 src1_sel:DWORD
	v_mul_u32_u24_sdwa v165, v121, v106 dst_sel:DWORD dst_unused:UNUSED_PAD src0_sel:WORD_1 src1_sel:DWORD
	;; [unrolled: 2-line block ×3, first 2 shown]
	v_pk_fma_f16 v172, v151, v22, v4
	v_pk_fma_f16 v173, v152, v23, v12
	;; [unrolled: 1-line block ×19, first 2 shown]
	v_mul_u32_u24_sdwa v168, v123, v106 dst_sel:DWORD dst_unused:UNUSED_PAD src0_sel:WORD_0 src1_sel:DWORD
	v_mul_u32_u24_sdwa v123, v123, v106 dst_sel:DWORD dst_unused:UNUSED_PAD src0_sel:WORD_1 src1_sel:DWORD
	s_waitcnt vmcnt(1)
	ds_write_b128 v100, v[156:159]
	s_waitcnt vmcnt(0)
	ds_write_b128 v101, v[160:163]
	s_waitcnt lgkmcnt(0)
	s_barrier
	buffer_gl0_inv
	ds_read2_b64 v[1:4], v102 offset1:32
	ds_read2_b64 v[5:8], v102 offset0:64 offset1:96
	ds_read_b128 v[9:12], v99 offset:192
	ds_read_b128 v[13:16], v99 offset:208
	ds_read2_b64 v[17:20], v102 offset0:128 offset1:160
	ds_read2_b64 v[21:24], v102 offset0:192 offset1:224
	ds_read2_b64 v[25:28], v130 offset1:32
	ds_read2_b64 v[33:36], v130 offset0:64 offset1:96
	ds_read2_b64 v[37:40], v130 offset0:128 offset1:160
	ds_read2_b64 v[49:52], v130 offset0:192 offset1:224
	ds_read2_b64 v[107:110], v131 offset1:32
	ds_read2_b64 v[111:114], v131 offset0:64 offset1:96
	ds_read2_b64 v[115:118], v131 offset0:128 offset1:160
	ds_read2_b64 v[119:122], v131 offset0:192 offset1:224
	ds_read2_b64 v[133:136], v132 offset1:32
	ds_read2_b64 v[137:140], v132 offset0:64 offset1:96
	ds_read2_b64 v[141:144], v132 offset0:128 offset1:160
	ds_read2_b64 v[145:148], v132 offset0:192 offset1:224
	s_waitcnt lgkmcnt(0)
	s_barrier
	buffer_gl0_inv
	s_clause 0x1
	global_load_dwordx4 v[149:152], v[79:80], off
	global_load_dwordx4 v[153:156], v[79:80], off offset:512
	v_pk_fma_f16 v79, v69, v90, v173
	v_pk_fma_f16 v69, v69, v124, v174
	v_pk_fma_f16 v80, v70, v90, v175
	v_pk_fma_f16 v70, v70, v124, v176
	v_pk_fma_f16 v157, v72, v90, v179
	v_pk_fma_f16 v72, v72, v124, v180
	v_pk_fma_f16 v158, v65, v90, v181
	v_pk_fma_f16 v65, v65, v124, v73
	v_pk_fma_f16 v73, v66, v90, v182
	v_pk_fma_f16 v66, v66, v124, v74
	v_pk_fma_f16 v74, v67, v90, v183
	v_pk_fma_f16 v67, v67, v124, v75
	v_pk_fma_f16 v75, v68, v90, v184
	v_pk_fma_f16 v68, v68, v124, v76
	v_pk_fma_f16 v76, v61, v164, v79
	v_pk_fma_f16 v61, v61, v165, v69
	v_pk_fma_f16 v69, v62, v164, v80
	v_pk_fma_f16 v62, v62, v165, v70
	v_pk_fma_f16 v70, v63, v164, v89
	v_pk_fma_f16 v63, v63, v165, v71
	v_pk_fma_f16 v71, v64, v164, v157
	v_pk_fma_f16 v64, v64, v165, v72
	v_pk_fma_f16 v72, v57, v164, v158
	v_pk_fma_f16 v57, v57, v165, v65
	v_pk_fma_f16 v65, v58, v164, v73
	v_pk_fma_f16 v58, v58, v165, v66
	v_pk_fma_f16 v66, v59, v164, v74
	v_pk_fma_f16 v59, v59, v165, v67
	v_pk_fma_f16 v67, v60, v164, v75
	v_pk_fma_f16 v60, v60, v165, v68
	v_pk_fma_f16 v68, v53, v166, v76
	v_pk_fma_f16 v53, v53, v167, v61
	v_pk_fma_f16 v61, v54, v166, v69
	v_pk_fma_f16 v54, v54, v167, v62
	v_pk_fma_f16 v62, v55, v166, v70
	v_pk_fma_f16 v55, v55, v167, v63
	v_pk_fma_f16 v63, v56, v166, v71
	v_pk_fma_f16 v56, v56, v167, v64
	v_pk_fma_f16 v64, v45, v166, v72
	v_pk_fma_f16 v45, v45, v167, v57
	v_pk_fma_f16 v57, v46, v166, v65
	v_pk_fma_f16 v46, v46, v167, v58
	v_pk_fma_f16 v58, v47, v166, v66
	v_pk_fma_f16 v47, v47, v167, v59
	v_pk_fma_f16 v59, v48, v166, v67
	v_pk_fma_f16 v48, v48, v167, v60
	v_pk_fma_f16 v60, v41, v168, v68
	v_pk_fma_f16 v41, v41, v123, v53
	v_pk_fma_f16 v53, v42, v168, v61
	v_pk_fma_f16 v42, v42, v123, v54
	v_pk_fma_f16 v54, v43, v168, v62
	v_pk_fma_f16 v43, v43, v123, v55
	v_pk_fma_f16 v55, v44, v168, v63
	v_pk_fma_f16 v44, v44, v123, v56
	v_pk_fma_f16 v56, v29, v168, v64
	v_pk_fma_f16 v29, v29, v123, v45
	v_pk_fma_f16 v45, v30, v168, v57
	v_pk_fma_f16 v30, v30, v123, v46
	v_pk_fma_f16 v46, v31, v168, v58
	v_pk_fma_f16 v31, v31, v123, v47
	v_pk_fma_f16 v47, v32, v168, v59
	v_pk_fma_f16 v32, v32, v123, v48
	v_mul_u32_u24_sdwa v48, v9, v106 dst_sel:DWORD dst_unused:UNUSED_PAD src0_sel:WORD_0 src1_sel:DWORD
	v_mul_u32_u24_sdwa v9, v9, v106 dst_sel:DWORD dst_unused:UNUSED_PAD src0_sel:WORD_1 src1_sel:DWORD
	v_mul_u32_u24_sdwa v57, v10, v106 dst_sel:DWORD dst_unused:UNUSED_PAD src0_sel:WORD_0 src1_sel:DWORD
	v_mul_u32_u24_sdwa v10, v10, v106 dst_sel:DWORD dst_unused:UNUSED_PAD src0_sel:WORD_1 src1_sel:DWORD
	;; [unrolled: 2-line block ×3, first 2 shown]
	v_pk_fma_f16 v16, v1, v48, v60
	v_pk_fma_f16 v1, v1, v9, v41
	v_pk_fma_f16 v41, v2, v48, v53
	v_pk_fma_f16 v2, v2, v9, v42
	v_pk_fma_f16 v42, v3, v48, v54
	v_pk_fma_f16 v3, v3, v9, v43
	v_pk_fma_f16 v43, v4, v48, v55
	v_pk_fma_f16 v4, v4, v9, v44
	v_pk_fma_f16 v44, v5, v48, v56
	v_pk_fma_f16 v5, v5, v9, v29
	v_pk_fma_f16 v29, v6, v48, v45
	v_pk_fma_f16 v6, v6, v9, v30
	v_pk_fma_f16 v30, v7, v48, v46
	v_mul_u32_u24_sdwa v58, v11, v106 dst_sel:DWORD dst_unused:UNUSED_PAD src0_sel:WORD_0 src1_sel:DWORD
	v_mul_u32_u24_sdwa v11, v11, v106 dst_sel:DWORD dst_unused:UNUSED_PAD src0_sel:WORD_1 src1_sel:DWORD
	v_pk_fma_f16 v7, v7, v9, v31
	v_pk_fma_f16 v31, v8, v48, v47
	v_pk_fma_f16 v8, v8, v9, v32
	v_pk_fma_f16 v9, v17, v57, v16
	v_pk_fma_f16 v1, v17, v10, v1
	v_pk_fma_f16 v16, v18, v57, v41
	v_pk_fma_f16 v2, v18, v10, v2
	v_pk_fma_f16 v17, v19, v57, v42
	v_pk_fma_f16 v3, v19, v10, v3
	v_pk_fma_f16 v18, v20, v57, v43
	v_pk_fma_f16 v4, v20, v10, v4
	v_pk_fma_f16 v19, v21, v57, v44
	v_pk_fma_f16 v5, v21, v10, v5
	v_pk_fma_f16 v20, v22, v57, v29
	v_pk_fma_f16 v6, v22, v10, v6
	v_pk_fma_f16 v21, v23, v57, v30
	v_mul_u32_u24_sdwa v59, v12, v106 dst_sel:DWORD dst_unused:UNUSED_PAD src0_sel:WORD_0 src1_sel:DWORD
	v_mul_u32_u24_sdwa v12, v12, v106 dst_sel:DWORD dst_unused:UNUSED_PAD src0_sel:WORD_1 src1_sel:DWORD
	v_pk_fma_f16 v7, v23, v10, v7
	v_pk_fma_f16 v22, v24, v57, v31
	v_pk_fma_f16 v8, v24, v10, v8
	;; [unrolled: 18-line block ×5, first 2 shown]
	v_pk_fma_f16 v9, v115, v62, v9
	v_pk_fma_f16 v1, v115, v14, v1
	;; [unrolled: 1-line block ×48, first 2 shown]
	s_waitcnt vmcnt(1)
	ds_write_b128 v100, v[149:152]
	s_waitcnt vmcnt(0)
	ds_write_b128 v101, v[153:156]
	s_waitcnt lgkmcnt(0)
	s_barrier
	buffer_gl0_inv
	ds_read2_b64 v[1:4], v102 offset1:32
	ds_read2_b64 v[5:8], v102 offset0:64 offset1:96
	ds_read_b128 v[9:12], v99 offset:224
	ds_read_b128 v[13:16], v99 offset:240
	ds_read2_b64 v[17:20], v102 offset0:128 offset1:160
	ds_read2_b64 v[21:24], v102 offset0:192 offset1:224
	ds_read2_b64 v[25:28], v130 offset1:32
	ds_read2_b64 v[29:32], v130 offset0:64 offset1:96
	ds_read2_b64 v[33:36], v130 offset0:128 offset1:160
	ds_read2_b64 v[37:40], v130 offset0:192 offset1:224
	ds_read2_b64 v[41:44], v131 offset1:32
	ds_read2_b64 v[45:48], v131 offset0:64 offset1:96
	;; [unrolled: 4-line block ×3, first 2 shown]
	ds_read2_b64 v[65:68], v132 offset0:128 offset1:160
	ds_read2_b64 v[69:72], v132 offset0:192 offset1:224
	s_waitcnt lgkmcnt(0)
	s_barrier
	buffer_gl0_inv
	s_load_dword s6, s[0:1], 0x4
	v_mul_u32_u24_sdwa v76, v9, v106 dst_sel:DWORD dst_unused:UNUSED_PAD src0_sel:WORD_0 src1_sel:DWORD
	v_mul_u32_u24_sdwa v9, v9, v106 dst_sel:DWORD dst_unused:UNUSED_PAD src0_sel:WORD_1 src1_sel:DWORD
	v_mul_u32_u24_sdwa v79, v10, v106 dst_sel:DWORD dst_unused:UNUSED_PAD src0_sel:WORD_0 src1_sel:DWORD
	v_mul_u32_u24_sdwa v10, v10, v106 dst_sel:DWORD dst_unused:UNUSED_PAD src0_sel:WORD_1 src1_sel:DWORD
	v_mul_u32_u24_sdwa v117, v11, v106 dst_sel:DWORD dst_unused:UNUSED_PAD src0_sel:WORD_0 src1_sel:DWORD
	v_pk_fma_f16 v80, v1, v76, v80
	v_pk_fma_f16 v1, v1, v9, v89
	;; [unrolled: 1-line block ×16, first 2 shown]
	v_mul_u32_u24_sdwa v11, v11, v106 dst_sel:DWORD dst_unused:UNUSED_PAD src0_sel:WORD_1 src1_sel:DWORD
	v_pk_fma_f16 v9, v17, v79, v80
	v_pk_fma_f16 v1, v17, v10, v1
	v_pk_fma_f16 v17, v18, v79, v89
	v_pk_fma_f16 v2, v18, v10, v2
	v_pk_fma_f16 v18, v19, v79, v90
	v_pk_fma_f16 v3, v19, v10, v3
	v_pk_fma_f16 v19, v20, v79, v107
	v_pk_fma_f16 v4, v20, v10, v4
	v_pk_fma_f16 v20, v21, v79, v108
	v_pk_fma_f16 v5, v21, v10, v5
	v_pk_fma_f16 v21, v22, v79, v109
	v_pk_fma_f16 v6, v22, v10, v6
	v_pk_fma_f16 v22, v23, v79, v110
	v_pk_fma_f16 v7, v23, v10, v7
	v_pk_fma_f16 v23, v24, v79, v73
	v_pk_fma_f16 v8, v24, v10, v8
	v_mul_u32_u24_sdwa v118, v12, v106 dst_sel:DWORD dst_unused:UNUSED_PAD src0_sel:WORD_0 src1_sel:DWORD
	v_mul_u32_u24_sdwa v12, v12, v106 dst_sel:DWORD dst_unused:UNUSED_PAD src0_sel:WORD_1 src1_sel:DWORD
	v_pk_fma_f16 v9, v25, v117, v9
	v_pk_fma_f16 v1, v25, v11, v1
	v_pk_fma_f16 v10, v26, v117, v17
	v_pk_fma_f16 v2, v26, v11, v2
	v_pk_fma_f16 v17, v27, v117, v18
	v_pk_fma_f16 v3, v27, v11, v3
	v_pk_fma_f16 v18, v28, v117, v19
	v_pk_fma_f16 v4, v28, v11, v4
	v_pk_fma_f16 v19, v29, v117, v20
	v_pk_fma_f16 v5, v29, v11, v5
	v_pk_fma_f16 v20, v30, v117, v21
	v_pk_fma_f16 v6, v30, v11, v6
	v_pk_fma_f16 v21, v31, v117, v22
	v_pk_fma_f16 v7, v31, v11, v7
	v_pk_fma_f16 v22, v32, v117, v23
	v_pk_fma_f16 v8, v32, v11, v8
	v_mul_u32_u24_sdwa v119, v13, v106 dst_sel:DWORD dst_unused:UNUSED_PAD src0_sel:WORD_0 src1_sel:DWORD
	;; [unrolled: 18-line block ×5, first 2 shown]
	v_mul_u32_u24_sdwa v16, v16, v106 dst_sel:DWORD dst_unused:UNUSED_PAD src0_sel:WORD_1 src1_sel:DWORD
	v_pk_fma_f16 v9, v57, v121, v9
	v_pk_fma_f16 v1, v57, v15, v1
	;; [unrolled: 1-line block ×16, first 2 shown]
	s_waitcnt lgkmcnt(0)
	s_lshl_b32 s6, s6, 6
	v_pk_fma_f16 v120, v65, v130, v9
	v_pk_fma_f16 v113, v65, v16, v1
	;; [unrolled: 1-line block ×16, first 2 shown]
	s_add_i32 s8, s6, s8
	s_cmp_ge_i32 s8, s30
	s_cbranch_scc1 .LBB24_31
; %bb.30:                               ;   in Loop: Header=BB24_13 Depth=1
	v_mov_b32_e32 v89, v87
	v_mov_b32_e32 v90, v88
	;; [unrolled: 1-line block ×4, first 2 shown]
	s_branch .LBB24_13
.LBB24_31:
	v_mov_b32_e32 v2, v94
.LBB24_32:
	v_cmp_lt_i32_e32 vcc_lo, v129, v95
	s_cmp_lg_u64 s[16:17], 0
	s_cselect_b32 s0, -1, 0
	s_cmp_eq_u32 s28, 0
	v_cndmask_b32_e32 v1, v2, v129, vcc_lo
	v_cmp_lt_i32_e32 vcc_lo, v125, v95
	s_cselect_b32 s1, -1, 0
	s_and_b32 s0, s1, s0
	v_lshlrev_b32_e32 v1, 2, v1
	v_cndmask_b32_e32 v4, v2, v125, vcc_lo
	v_cmp_lt_i32_e32 vcc_lo, v126, v95
	ds_bpermute_b32 v3, v1, v77
	ds_bpermute_b32 v1, v1, v78
	v_lshlrev_b32_e32 v4, 2, v4
	v_cndmask_b32_e32 v6, v2, v126, vcc_lo
	v_cmp_lt_i32_e32 vcc_lo, v127, v95
	v_lshlrev_b32_e32 v6, 2, v6
	s_waitcnt lgkmcnt(1)
	v_add_f32_e32 v3, v77, v3
	s_waitcnt lgkmcnt(0)
	v_add_f32_e32 v1, v78, v1
	ds_bpermute_b32 v5, v4, v3
	ds_bpermute_b32 v4, v4, v1
	s_waitcnt lgkmcnt(1)
	v_add_f32_e32 v3, v3, v5
	s_waitcnt lgkmcnt(0)
	v_add_f32_e32 v1, v1, v4
	ds_bpermute_b32 v4, v6, v3
	ds_bpermute_b32 v5, v6, v1
	v_cndmask_b32_e32 v6, v2, v127, vcc_lo
	v_cmp_lt_i32_e32 vcc_lo, v128, v95
	v_lshlrev_b32_e32 v6, 2, v6
	v_cndmask_b32_e32 v2, v2, v128, vcc_lo
	s_and_b32 vcc_lo, exec_lo, s0
	s_mov_b32 s0, 0
	v_lshlrev_b32_e32 v2, 2, v2
	s_waitcnt lgkmcnt(1)
	v_add_f32_e32 v3, v3, v4
	s_waitcnt lgkmcnt(0)
	v_add_f32_e32 v1, v1, v5
	ds_bpermute_b32 v4, v6, v3
	ds_bpermute_b32 v5, v6, v1
	s_waitcnt lgkmcnt(1)
	v_add_f32_e32 v3, v3, v4
	s_waitcnt lgkmcnt(0)
	v_add_f32_e32 v1, v1, v5
	v_add_nc_u32_e32 v5, s33, v92
	ds_bpermute_b32 v4, v2, v3
	ds_bpermute_b32 v2, v2, v1
	s_waitcnt lgkmcnt(1)
	v_add_f32_e32 v3, v3, v4
	s_waitcnt lgkmcnt(0)
	v_add_f32_e32 v4, v1, v2
	s_cbranch_vccnz .LBB24_35
; %bb.33:
	v_mov_b32_e32 v1, v3
	v_add_nc_u32_e32 v6, s33, v92
	v_mov_b32_e32 v2, v4
	s_andn2_b32 vcc_lo, exec_lo, s0
	s_cbranch_vccz .LBB24_36
; %bb.34:
	v_mov_b32_e32 v5, v6
	s_branch .LBB24_37
.LBB24_35:
                                        ; implicit-def: $vgpr6
                                        ; implicit-def: $vgpr1_vgpr2
.LBB24_36:
	v_ashrrev_i32_e32 v6, 31, v5
	v_max_f32_e32 v8, v88, v88
	v_lshlrev_b64 v[1:2], 2, v[5:6]
	v_max_f32_e32 v6, v87, v87
	v_add_co_u32 v1, vcc_lo, s16, v1
	v_add_co_ci_u32_e64 v2, null, s17, v2, vcc_lo
	global_load_dwordx2 v[1:2], v[1:2], off
	s_waitcnt vmcnt(0)
	v_max_f32_e32 v7, v1, v1
	v_max_f32_e32 v9, v2, v2
	;; [unrolled: 1-line block ×4, first 2 shown]
	v_sub_f32_e32 v8, v87, v6
	v_sub_f32_e32 v1, v1, v6
	;; [unrolled: 1-line block ×4, first 2 shown]
	v_mov_b32_e32 v88, v7
	v_mul_f32_e32 v10, 0x3fb8aa3b, v8
	v_mul_f32_e32 v11, 0x3fb8aa3b, v1
	;; [unrolled: 1-line block ×4, first 2 shown]
	v_cmp_ngt_f32_e32 vcc_lo, 0xc2ce8ed0, v8
	v_fma_f32 v14, 0x3fb8aa3b, v8, -v10
	v_rndne_f32_e32 v15, v10
	v_fma_f32 v16, 0x3fb8aa3b, v1, -v11
	v_rndne_f32_e32 v17, v11
	v_fma_f32 v18, 0x3fb8aa3b, v9, -v12
	v_fmac_f32_e32 v14, 0x32a5705f, v8
	v_sub_f32_e32 v10, v10, v15
	v_rndne_f32_e32 v19, v12
	v_fmac_f32_e32 v16, 0x32a5705f, v1
	v_sub_f32_e32 v11, v11, v17
	v_fma_f32 v20, 0x3fb8aa3b, v2, -v13
	v_add_f32_e32 v10, v10, v14
	v_rndne_f32_e32 v21, v13
	v_fmac_f32_e32 v18, 0x32a5705f, v9
	v_sub_f32_e32 v12, v12, v19
	v_add_f32_e32 v11, v11, v16
	v_exp_f32_e32 v10, v10
	v_fmac_f32_e32 v20, 0x32a5705f, v2
	v_sub_f32_e32 v13, v13, v21
	v_add_f32_e32 v12, v12, v18
	v_exp_f32_e32 v11, v11
	v_cvt_i32_f32_e32 v14, v15
	v_cvt_i32_f32_e32 v15, v17
	v_add_f32_e32 v13, v13, v20
	v_exp_f32_e32 v12, v12
	v_cvt_i32_f32_e32 v16, v19
	v_ldexp_f32 v10, v10, v14
	v_cvt_i32_f32_e32 v17, v21
	v_exp_f32_e32 v13, v13
	v_mov_b32_e32 v18, 0x10001
	v_ldexp_f32 v11, v11, v15
	v_cndmask_b32_e32 v10, 0, v10, vcc_lo
	v_cmp_ngt_f32_e32 vcc_lo, 0xc2ce8ed0, v1
	v_mov_b32_e32 v87, v6
	v_ldexp_f32 v12, v12, v16
	v_cndmask_b32_e32 v11, 0, v11, vcc_lo
	v_cmp_ngt_f32_e32 vcc_lo, 0xc2ce8ed0, v9
	v_ldexp_f32 v13, v13, v17
	v_cndmask_b32_e32 v12, 0, v12, vcc_lo
	v_cmp_ngt_f32_e32 vcc_lo, 0xc2ce8ed0, v2
	v_cndmask_b32_e32 v13, 0, v13, vcc_lo
	v_cmp_nlt_f32_e32 vcc_lo, 0x42b17218, v8
	v_cndmask_b32_e32 v8, 0x7f800000, v10, vcc_lo
	v_cmp_nlt_f32_e32 vcc_lo, 0x42b17218, v9
	v_cvt_f16_f32_e32 v10, v8
	v_cndmask_b32_e32 v9, 0x7f800000, v12, vcc_lo
	v_cmp_nlt_f32_e32 vcc_lo, 0x42b17218, v1
	v_cndmask_b32_e32 v1, 0x7f800000, v11, vcc_lo
	v_cmp_nlt_f32_e32 vcc_lo, 0x42b17218, v2
	v_cvt_f16_f32_e32 v11, v9
	v_fmac_f32_e32 v1, v3, v8
	v_cndmask_b32_e32 v2, 0x7f800000, v13, vcc_lo
	v_mul_u32_u24_sdwa v8, v10, v18 dst_sel:DWORD dst_unused:UNUSED_PAD src0_sel:WORD_0 src1_sel:DWORD
	v_mov_b32_e32 v3, v1
	v_fmac_f32_e32 v2, v4, v9
	v_mul_u32_u24_sdwa v4, v11, v18 dst_sel:DWORD dst_unused:UNUSED_PAD src0_sel:WORD_0 src1_sel:DWORD
	v_pk_mul_f16 v120, v120, v8
	v_pk_mul_f16 v124, v124, v8
	;; [unrolled: 1-line block ×16, first 2 shown]
	v_mov_b32_e32 v4, v2
.LBB24_37:
	s_load_dword s1, s[4:5], 0xd4
	v_mov_b32_e32 v7, 1.0
	s_waitcnt lgkmcnt(0)
	s_cmp_lg_u32 s1, 1
	s_cselect_b32 s5, -1, 0
	s_cmp_eq_u32 s1, 1
	s_cselect_b32 s4, -1, 0
	s_and_b32 vcc_lo, exec_lo, s5
	s_cbranch_vccnz .LBB24_39
; %bb.38:
	v_div_scale_f32 v6, null, v3, v3, 1.0
	v_rcp_f32_e32 v7, v6
	v_fma_f32 v8, -v6, v7, 1.0
	v_fmac_f32_e32 v7, v8, v7
	v_div_scale_f32 v8, vcc_lo, 1.0, v3, 1.0
	v_mul_f32_e32 v9, v8, v7
	v_fma_f32 v10, -v6, v9, v8
	v_fmac_f32_e32 v9, v10, v7
	v_fma_f32 v6, -v6, v9, v8
	v_div_fmas_f32 v6, v6, v7, v9
	v_div_fixup_f32 v7, v6, v3, 1.0
.LBB24_39:
	v_mad_u64_u32 v[8:9], null, s29, s2, v[81:82]
	v_mov_b32_e32 v21, 0
	v_cvt_f32_f16_sdwa v13, v123 dst_sel:DWORD dst_unused:UNUSED_PAD src0_sel:WORD_1
	v_cvt_f32_f16_sdwa v16, v122 dst_sel:DWORD dst_unused:UNUSED_PAD src0_sel:WORD_1
	v_cmp_eq_u32_e32 vcc_lo, 0, v0
	v_cvt_f32_f16_sdwa v0, v124 dst_sel:DWORD dst_unused:UNUSED_PAD src0_sel:WORD_1
	v_mov_b32_e32 v17, v21
	v_mad_u64_u32 v[5:6], null, v8, s3, v[5:6]
	v_mul_f32_e32 v15, v7, v13
	v_mul_f32_e32 v13, v7, v16
	v_cvt_f32_f16_e32 v3, v124
	v_mov_b32_e32 v23, v21
	v_cvt_f32_f16_sdwa v8, v120 dst_sel:DWORD dst_unused:UNUSED_PAD src0_sel:WORD_1
	v_cvt_f32_f16_e32 v12, v120
	v_mad_u64_u32 v[5:6], null, s1, v5, s[28:29]
	v_cvt_f32_f16_e32 v6, v122
	v_mul_f32_e32 v11, v7, v0
	v_mul_f32_e32 v10, v7, v3
	v_cvt_f32_f16_sdwa v0, v119 dst_sel:DWORD dst_unused:UNUSED_PAD src0_sel:WORD_1
	v_cvt_f32_f16_e32 v3, v119
	v_cvt_f32_f16_sdwa v28, v121 dst_sel:DWORD dst_unused:UNUSED_PAD src0_sel:WORD_1
	v_lshl_add_u32 v20, v5, 9, v91
	v_cvt_f32_f16_e32 v14, v123
	v_cvt_f32_f16_e32 v29, v121
	v_mul_f32_e32 v9, v7, v8
	v_mul_f32_e32 v8, v7, v12
	v_add_nc_u32_e32 v16, 0x80, v20
	v_lshlrev_b64 v[18:19], 2, v[20:21]
	v_add_nc_u32_e32 v22, 0x100, v20
	v_add_nc_u32_e32 v20, 0x180, v20
	v_mul_f32_e32 v12, v7, v6
	v_lshlrev_b64 v[16:17], 2, v[16:17]
	v_cvt_f32_f16_sdwa v6, v117 dst_sel:DWORD dst_unused:UNUSED_PAD src0_sel:WORD_1
	v_lshlrev_b64 v[22:23], 2, v[22:23]
	v_add_co_u32 v24, s0, s20, v18
	v_lshlrev_b64 v[30:31], 2, v[20:21]
	v_add_co_ci_u32_e64 v25, null, s21, v19, s0
	v_add_co_u32 v26, s0, s20, v16
	v_add_co_ci_u32_e64 v27, null, s21, v17, s0
	v_mul_f32_e32 v17, v7, v0
	v_mul_f32_e32 v16, v7, v3
	v_cvt_f32_f16_sdwa v0, v118 dst_sel:DWORD dst_unused:UNUSED_PAD src0_sel:WORD_1
	v_cvt_f32_f16_e32 v3, v118
	v_cvt_f32_f16_e32 v32, v117
	v_mul_f32_e32 v19, v7, v28
	v_add_co_u32 v28, s0, s20, v22
	v_mul_f32_e32 v14, v7, v14
	v_mul_f32_e32 v18, v7, v29
	v_add_co_ci_u32_e64 v29, null, s21, v23, s0
	v_mul_f32_e32 v21, v7, v6
	v_add_co_u32 v6, s0, s20, v30
	v_mul_f32_e32 v23, v7, v0
	v_mul_f32_e32 v22, v7, v3
	;; [unrolled: 1-line block ×3, first 2 shown]
	v_add_co_ci_u32_e64 v7, null, s21, v31, s0
	s_and_b32 s0, vcc_lo, s5
	global_store_dwordx4 v[24:25], v[8:11], off
	global_store_dwordx4 v[26:27], v[12:15], off
	;; [unrolled: 1-line block ×4, first 2 shown]
	s_and_saveexec_b32 s2, s0
	s_cbranch_execz .LBB24_41
; %bb.40:
	v_ashrrev_i32_e32 v6, 31, v5
	v_mov_b32_e32 v0, v87
	v_lshlrev_b64 v[6:7], 3, v[5:6]
	v_add_co_u32 v6, vcc_lo, s22, v6
	v_add_co_ci_u32_e64 v7, null, s23, v7, vcc_lo
	global_store_dwordx2 v[6:7], v[0:1], off
.LBB24_41:
	s_or_b32 exec_lo, exec_lo, s2
	v_mov_b32_e32 v1, 1.0
	s_andn2_b32 vcc_lo, exec_lo, s4
	s_cbranch_vccnz .LBB24_43
; %bb.42:
	v_div_scale_f32 v0, null, v4, v4, 1.0
	v_rcp_f32_e32 v1, v0
	v_fma_f32 v3, -v0, v1, 1.0
	v_fmac_f32_e32 v1, v3, v1
	v_div_scale_f32 v3, vcc_lo, 1.0, v4, 1.0
	v_mul_f32_e32 v6, v3, v1
	v_fma_f32 v7, -v0, v6, v3
	v_fmac_f32_e32 v6, v7, v1
	v_fma_f32 v0, -v0, v6, v3
	v_div_fmas_f32 v0, v0, v1, v6
	v_div_fixup_f32 v1, v0, v4, 1.0
.LBB24_43:
	v_add_nc_u32_e32 v0, s1, v5
	v_cvt_f32_f16_sdwa v3, v116 dst_sel:DWORD dst_unused:UNUSED_PAD src0_sel:WORD_1
	v_mov_b32_e32 v16, 0
	v_cvt_f32_f16_e32 v4, v116
	v_cvt_f32_f16_sdwa v9, v113 dst_sel:DWORD dst_unused:UNUSED_PAD src0_sel:WORD_1
	v_lshl_add_u32 v15, v0, 9, v91
	v_cvt_f32_f16_e32 v10, v113
	v_mul_f32_e32 v6, v1, v3
	v_mul_f32_e32 v5, v1, v4
	;; [unrolled: 1-line block ×3, first 2 shown]
	v_add_nc_u32_e32 v9, 0x80, v15
	v_mul_f32_e32 v3, v1, v10
	v_mov_b32_e32 v10, v16
	v_lshlrev_b64 v[7:8], 2, v[15:16]
	v_cvt_f32_f16_sdwa v13, v114 dst_sel:DWORD dst_unused:UNUSED_PAD src0_sel:WORD_1
	v_cvt_f32_f16_e32 v25, v111
	v_cvt_f32_f16_e32 v14, v114
	v_lshlrev_b64 v[11:12], 2, v[9:10]
	v_cvt_f32_f16_e32 v23, v112
	v_add_co_u32 v19, vcc_lo, s20, v7
	v_add_co_ci_u32_e64 v20, null, s21, v8, vcc_lo
	v_add_co_u32 v21, vcc_lo, s20, v11
	v_add_co_ci_u32_e64 v22, null, s21, v12, vcc_lo
	v_add_nc_u32_e32 v11, 0x100, v15
	v_mov_b32_e32 v12, v16
	v_cvt_f32_f16_e32 v8, v115
	v_add_nc_u32_e32 v15, 0x180, v15
	v_cvt_f32_f16_sdwa v7, v115 dst_sel:DWORD dst_unused:UNUSED_PAD src0_sel:WORD_1
	v_cvt_f32_f16_sdwa v24, v111 dst_sel:DWORD dst_unused:UNUSED_PAD src0_sel:WORD_1
	v_lshlrev_b64 v[17:18], 2, v[11:12]
	v_mul_f32_e32 v9, v1, v8
	v_mul_f32_e32 v8, v1, v13
	v_cvt_f32_f16_sdwa v13, v112 dst_sel:DWORD dst_unused:UNUSED_PAD src0_sel:WORD_1
	v_mul_f32_e32 v11, v1, v25
	v_lshlrev_b64 v[25:26], 2, v[15:16]
	v_mul_f32_e32 v10, v1, v7
	v_mul_f32_e32 v7, v1, v14
	;; [unrolled: 1-line block ×4, first 2 shown]
	v_add_co_u32 v23, vcc_lo, s20, v17
	v_cvt_f32_f16_sdwa v17, v109 dst_sel:DWORD dst_unused:UNUSED_PAD src0_sel:WORD_1
	v_cvt_f32_f16_e32 v27, v109
	v_cvt_f32_f16_sdwa v28, v110 dst_sel:DWORD dst_unused:UNUSED_PAD src0_sel:WORD_1
	v_cvt_f32_f16_e32 v29, v110
	v_mul_f32_e32 v12, v1, v24
	v_add_co_ci_u32_e64 v24, null, s21, v18, vcc_lo
	v_add_co_u32 v25, vcc_lo, s20, v25
	v_mul_f32_e32 v18, v1, v17
	v_mul_f32_e32 v17, v1, v27
	;; [unrolled: 1-line block ×4, first 2 shown]
	v_add_co_ci_u32_e64 v26, null, s21, v26, vcc_lo
	global_store_dwordx4 v[19:20], v[3:6], off
	global_store_dwordx4 v[21:22], v[7:10], off
	;; [unrolled: 1-line block ×4, first 2 shown]
	s_and_saveexec_b32 s1, s0
	s_cbranch_execz .LBB24_45
; %bb.44:
	v_ashrrev_i32_e32 v1, 31, v0
	v_lshlrev_b64 v[0:1], 3, v[0:1]
	v_add_co_u32 v3, vcc_lo, s22, v0
	v_add_co_ci_u32_e64 v4, null, s23, v1, vcc_lo
	v_mov_b32_e32 v1, v88
	global_store_dwordx2 v[3:4], v[1:2], off
.LBB24_45:
	s_endpgm
	.section	.rodata,"a",@progbits
	.p2align	6, 0x0
	.amdhsa_kernel _ZL15flash_attn_tileILi576ELi512ELi1ELi16ELb1EEvPKcS1_S1_S1_S1_PKiPfP15HIP_vector_typeIfLj2EEffffjfiS5_IjLj3EEiiiiiiiiiiiliiliiiiil
		.amdhsa_group_segment_fixed_size 29696
		.amdhsa_private_segment_fixed_size 0
		.amdhsa_kernarg_size 464
		.amdhsa_user_sgpr_count 6
		.amdhsa_user_sgpr_private_segment_buffer 1
		.amdhsa_user_sgpr_dispatch_ptr 0
		.amdhsa_user_sgpr_queue_ptr 0
		.amdhsa_user_sgpr_kernarg_segment_ptr 1
		.amdhsa_user_sgpr_dispatch_id 0
		.amdhsa_user_sgpr_flat_scratch_init 0
		.amdhsa_user_sgpr_private_segment_size 0
		.amdhsa_wavefront_size32 1
		.amdhsa_uses_dynamic_stack 0
		.amdhsa_system_sgpr_private_segment_wavefront_offset 0
		.amdhsa_system_sgpr_workgroup_id_x 1
		.amdhsa_system_sgpr_workgroup_id_y 1
		.amdhsa_system_sgpr_workgroup_id_z 1
		.amdhsa_system_sgpr_workgroup_info 0
		.amdhsa_system_vgpr_workitem_id 1
		.amdhsa_next_free_vgpr 185
		.amdhsa_next_free_sgpr 40
		.amdhsa_reserve_vcc 1
		.amdhsa_reserve_flat_scratch 0
		.amdhsa_float_round_mode_32 0
		.amdhsa_float_round_mode_16_64 0
		.amdhsa_float_denorm_mode_32 3
		.amdhsa_float_denorm_mode_16_64 3
		.amdhsa_dx10_clamp 1
		.amdhsa_ieee_mode 1
		.amdhsa_fp16_overflow 0
		.amdhsa_workgroup_processor_mode 1
		.amdhsa_memory_ordered 1
		.amdhsa_forward_progress 1
		.amdhsa_shared_vgpr_count 0
		.amdhsa_exception_fp_ieee_invalid_op 0
		.amdhsa_exception_fp_denorm_src 0
		.amdhsa_exception_fp_ieee_div_zero 0
		.amdhsa_exception_fp_ieee_overflow 0
		.amdhsa_exception_fp_ieee_underflow 0
		.amdhsa_exception_fp_ieee_inexact 0
		.amdhsa_exception_int_div_zero 0
	.end_amdhsa_kernel
	.section	.text._ZL15flash_attn_tileILi576ELi512ELi1ELi16ELb1EEvPKcS1_S1_S1_S1_PKiPfP15HIP_vector_typeIfLj2EEffffjfiS5_IjLj3EEiiiiiiiiiiiliiliiiiil,"axG",@progbits,_ZL15flash_attn_tileILi576ELi512ELi1ELi16ELb1EEvPKcS1_S1_S1_S1_PKiPfP15HIP_vector_typeIfLj2EEffffjfiS5_IjLj3EEiiiiiiiiiiiliiliiiiil,comdat
.Lfunc_end24:
	.size	_ZL15flash_attn_tileILi576ELi512ELi1ELi16ELb1EEvPKcS1_S1_S1_S1_PKiPfP15HIP_vector_typeIfLj2EEffffjfiS5_IjLj3EEiiiiiiiiiiiliiliiiiil, .Lfunc_end24-_ZL15flash_attn_tileILi576ELi512ELi1ELi16ELb1EEvPKcS1_S1_S1_S1_PKiPfP15HIP_vector_typeIfLj2EEffffjfiS5_IjLj3EEiiiiiiiiiiiliiliiiiil
                                        ; -- End function
	.set _ZL15flash_attn_tileILi576ELi512ELi1ELi16ELb1EEvPKcS1_S1_S1_S1_PKiPfP15HIP_vector_typeIfLj2EEffffjfiS5_IjLj3EEiiiiiiiiiiiliiliiiiil.num_vgpr, 185
	.set _ZL15flash_attn_tileILi576ELi512ELi1ELi16ELb1EEvPKcS1_S1_S1_S1_PKiPfP15HIP_vector_typeIfLj2EEffffjfiS5_IjLj3EEiiiiiiiiiiiliiliiiiil.num_agpr, 0
	.set _ZL15flash_attn_tileILi576ELi512ELi1ELi16ELb1EEvPKcS1_S1_S1_S1_PKiPfP15HIP_vector_typeIfLj2EEffffjfiS5_IjLj3EEiiiiiiiiiiiliiliiiiil.numbered_sgpr, 40
	.set _ZL15flash_attn_tileILi576ELi512ELi1ELi16ELb1EEvPKcS1_S1_S1_S1_PKiPfP15HIP_vector_typeIfLj2EEffffjfiS5_IjLj3EEiiiiiiiiiiiliiliiiiil.num_named_barrier, 0
	.set _ZL15flash_attn_tileILi576ELi512ELi1ELi16ELb1EEvPKcS1_S1_S1_S1_PKiPfP15HIP_vector_typeIfLj2EEffffjfiS5_IjLj3EEiiiiiiiiiiiliiliiiiil.private_seg_size, 0
	.set _ZL15flash_attn_tileILi576ELi512ELi1ELi16ELb1EEvPKcS1_S1_S1_S1_PKiPfP15HIP_vector_typeIfLj2EEffffjfiS5_IjLj3EEiiiiiiiiiiiliiliiiiil.uses_vcc, 1
	.set _ZL15flash_attn_tileILi576ELi512ELi1ELi16ELb1EEvPKcS1_S1_S1_S1_PKiPfP15HIP_vector_typeIfLj2EEffffjfiS5_IjLj3EEiiiiiiiiiiiliiliiiiil.uses_flat_scratch, 0
	.set _ZL15flash_attn_tileILi576ELi512ELi1ELi16ELb1EEvPKcS1_S1_S1_S1_PKiPfP15HIP_vector_typeIfLj2EEffffjfiS5_IjLj3EEiiiiiiiiiiiliiliiiiil.has_dyn_sized_stack, 0
	.set _ZL15flash_attn_tileILi576ELi512ELi1ELi16ELb1EEvPKcS1_S1_S1_S1_PKiPfP15HIP_vector_typeIfLj2EEffffjfiS5_IjLj3EEiiiiiiiiiiiliiliiiiil.has_recursion, 0
	.set _ZL15flash_attn_tileILi576ELi512ELi1ELi16ELb1EEvPKcS1_S1_S1_S1_PKiPfP15HIP_vector_typeIfLj2EEffffjfiS5_IjLj3EEiiiiiiiiiiiliiliiiiil.has_indirect_call, 0
	.section	.AMDGPU.csdata,"",@progbits
; Kernel info:
; codeLenInByte = 44728
; TotalNumSgprs: 42
; NumVgprs: 185
; ScratchSize: 0
; MemoryBound: 0
; FloatMode: 240
; IeeeMode: 1
; LDSByteSize: 29696 bytes/workgroup (compile time only)
; SGPRBlocks: 0
; VGPRBlocks: 23
; NumSGPRsForWavesPerEU: 42
; NumVGPRsForWavesPerEU: 185
; Occupancy: 5
; WaveLimiterHint : 1
; COMPUTE_PGM_RSRC2:SCRATCH_EN: 0
; COMPUTE_PGM_RSRC2:USER_SGPR: 6
; COMPUTE_PGM_RSRC2:TRAP_HANDLER: 0
; COMPUTE_PGM_RSRC2:TGID_X_EN: 1
; COMPUTE_PGM_RSRC2:TGID_Y_EN: 1
; COMPUTE_PGM_RSRC2:TGID_Z_EN: 1
; COMPUTE_PGM_RSRC2:TIDIG_COMP_CNT: 1
	.section	.text._ZL15flash_attn_tileILi576ELi512ELi8ELi4ELb1EEvPKcS1_S1_S1_S1_PKiPfP15HIP_vector_typeIfLj2EEffffjfiS5_IjLj3EEiiiiiiiiiiiliiliiiiil,"axG",@progbits,_ZL15flash_attn_tileILi576ELi512ELi8ELi4ELb1EEvPKcS1_S1_S1_S1_PKiPfP15HIP_vector_typeIfLj2EEffffjfiS5_IjLj3EEiiiiiiiiiiiliiliiiiil,comdat
	.globl	_ZL15flash_attn_tileILi576ELi512ELi8ELi4ELb1EEvPKcS1_S1_S1_S1_PKiPfP15HIP_vector_typeIfLj2EEffffjfiS5_IjLj3EEiiiiiiiiiiiliiliiiiil ; -- Begin function _ZL15flash_attn_tileILi576ELi512ELi8ELi4ELb1EEvPKcS1_S1_S1_S1_PKiPfP15HIP_vector_typeIfLj2EEffffjfiS5_IjLj3EEiiiiiiiiiiiliiliiiiil
	.p2align	8
	.type	_ZL15flash_attn_tileILi576ELi512ELi8ELi4ELb1EEvPKcS1_S1_S1_S1_PKiPfP15HIP_vector_typeIfLj2EEffffjfiS5_IjLj3EEiiiiiiiiiiiliiliiiiil,@function
_ZL15flash_attn_tileILi576ELi512ELi8ELi4ELb1EEvPKcS1_S1_S1_S1_PKiPfP15HIP_vector_typeIfLj2EEffffjfiS5_IjLj3EEiiiiiiiiiiiliiliiiiil: ; @_ZL15flash_attn_tileILi576ELi512ELi8ELi4ELb1EEvPKcS1_S1_S1_S1_PKiPfP15HIP_vector_typeIfLj2EEffffjfiS5_IjLj3EEiiiiiiiiiiiliiliiiiil
; %bb.0:
	s_clause 0x1
	s_load_dwordx4 s[0:3], s[4:5], 0x5c
	s_load_dwordx2 s[34:35], s[4:5], 0x80
	s_mov_b32 s28, s7
	s_mov_b64 s[36:37], 0
	s_waitcnt lgkmcnt(0)
	s_ashr_i32 s7, s3, 31
	s_lshr_b32 s7, s7, 30
	s_add_i32 s7, s3, s7
	s_ashr_i32 s7, s7, 2
	v_cvt_f32_u32_e32 v2, s7
	s_sub_i32 s10, 0, s7
	v_rcp_iflag_f32_e32 v2, v2
	v_mul_f32_e32 v2, 0x4f7ffffe, v2
	v_cvt_u32_f32_e32 v2, v2
	v_readfirstlane_b32 s9, v2
	s_mul_i32 s10, s10, s9
	s_mul_hi_u32 s10, s9, s10
	s_add_i32 s9, s9, s10
	s_mul_hi_u32 s9, s8, s9
	s_mul_i32 s10, s9, s7
	s_add_i32 s11, s9, 1
	s_sub_i32 s10, s8, s10
	s_sub_i32 s12, s10, s7
	s_cmp_ge_u32 s10, s7
	s_cselect_b32 s9, s11, s9
	s_cselect_b32 s10, s12, s10
	s_add_i32 s11, s9, 1
	s_cmp_ge_u32 s10, s7
	s_cselect_b32 s29, s11, s9
	s_abs_i32 s7, s35
	s_lshl_b32 s8, s8, 2
	v_cvt_f32_u32_e32 v2, s7
	s_sub_i32 s10, 0, s7
	s_mul_i32 s11, s29, s3
	s_abs_i32 s12, s3
	s_sub_i32 s30, s8, s11
	v_rcp_iflag_f32_e32 v2, v2
	v_mul_f32_e32 v2, 0x4f7ffffe, v2
	v_cvt_u32_f32_e32 v2, v2
	v_readfirstlane_b32 s9, v2
	s_mul_i32 s10, s10, s9
	s_mul_hi_u32 s10, s9, s10
	s_add_i32 s9, s9, s10
	s_mul_hi_u32 s8, s12, s9
	s_xor_b32 s9, s3, s35
	s_mul_i32 s10, s8, s7
	s_ashr_i32 s9, s9, 31
	s_sub_i32 s10, s12, s10
	s_add_i32 s11, s8, 1
	s_sub_i32 s12, s10, s7
	s_cmp_ge_u32 s10, s7
	s_cselect_b32 s8, s11, s8
	s_cselect_b32 s10, s12, s10
	s_add_i32 s11, s8, 1
	s_cmp_ge_u32 s10, s7
	s_cselect_b32 s7, s11, s8
	s_xor_b32 s7, s7, s9
	s_sub_i32 s31, s7, s9
	s_clause 0x1
	s_load_dwordx16 s[8:23], s[4:5], 0x0
	s_load_dwordx2 s[38:39], s[4:5], 0xb8
	s_abs_i32 s7, s31
	v_cvt_f32_u32_e32 v2, s7
	v_rcp_iflag_f32_e32 v2, v2
	v_mul_f32_e32 v2, 0x4f7ffffe, v2
	s_waitcnt lgkmcnt(0)
	s_cmp_eq_u64 s[14:15], 0
	v_cvt_u32_f32_e32 v2, v2
	v_readfirstlane_b32 s33, v2
	s_cbranch_scc1 .LBB25_2
; %bb.1:
	s_abs_i32 s26, s38
	s_abs_i32 s27, s29
	v_cvt_f32_u32_e32 v2, s26
	s_sub_i32 s25, 0, s26
	v_rcp_iflag_f32_e32 v2, v2
	v_mul_f32_e32 v2, 0x4f7ffffe, v2
	v_cvt_u32_f32_e32 v2, v2
	v_readfirstlane_b32 s24, v2
	s_mul_i32 s25, s25, s24
	s_mul_hi_u32 s25, s24, s25
	s_add_i32 s24, s24, s25
	s_mul_hi_u32 s35, s27, s24
	s_load_dwordx2 s[24:25], s[4:5], 0xc8
	s_mul_i32 s35, s35, s26
	s_sub_i32 s27, s27, s35
	s_ashr_i32 s35, s29, 31
	s_sub_i32 s36, s27, s26
	s_cmp_ge_u32 s27, s26
	s_cselect_b32 s27, s36, s27
	s_sub_i32 s36, s27, s26
	s_cmp_ge_u32 s27, s26
	s_cselect_b32 s26, s36, s27
	s_xor_b32 s26, s26, s35
	s_sub_i32 s26, s26, s35
	s_ashr_i32 s27, s26, 31
	s_waitcnt lgkmcnt(0)
	s_mul_hi_u32 s35, s24, s26
	s_mul_i32 s27, s24, s27
	s_mul_i32 s25, s25, s26
	s_add_i32 s27, s35, s27
	s_mul_i32 s24, s24, s26
	s_add_i32 s27, s27, s25
	s_add_u32 s36, s14, s24
	s_addc_u32 s37, s15, s27
.LBB25_2:
	v_lshl_add_u32 v17, s6, 3, v1
	s_load_dwordx4 s[24:27], s[4:5], 0x70
	v_lshlrev_b32_e32 v32, 3, v0
	v_mul_u32_u24_e32 v33, 0x1200, v1
	v_mul_hi_u32 v2, s0, v17
	v_mad_u32_u24 v15, 0x1200, v1, v32
	v_add_nc_u32_e32 v2, v17, v2
	v_lshrrev_b32_e32 v2, s1, v2
	s_waitcnt lgkmcnt(0)
	s_mul_i32 s1, s29, s26
	s_mul_i32 s14, s30, s25
	v_mul_lo_u32 v2, v2, s2
	s_ashr_i32 s15, s1, 31
	s_add_u32 s1, s8, s1
	s_addc_u32 s8, s9, s15
	s_ashr_i32 s9, s14, 31
	s_add_u32 s14, s1, s14
	s_mov_b32 s0, s24
	s_addc_u32 s15, s8, s9
	v_sub_nc_u32_e32 v6, v17, v2
	s_ashr_i32 s1, s24, 31
	s_lshr_b64 s[8:9], s[0:1], 2
	s_lshr_b32 s0, s1, 2
	v_mad_u64_u32 v[2:3], null, s8, v6, 0
	v_mad_u64_u32 v[3:4], null, s0, v6, v[3:4]
	v_lshlrev_b32_e32 v4, 4, v0
	v_lshlrev_b64 v[2:3], 2, v[2:3]
	v_add_co_u32 v2, vcc_lo, s14, v2
	v_add_co_ci_u32_e64 v3, null, s15, v3, vcc_lo
	s_load_dword s14, s[4:5], 0x40
	v_add_co_u32 v2, vcc_lo, v2, v4
	v_add_co_ci_u32_e64 v3, null, 0, v3, vcc_lo
	v_cmp_gt_u32_e32 vcc_lo, 16, v0
	s_clause 0x3
	global_load_dwordx4 v[7:10], v[2:3], off
	global_load_dwordx4 v[11:14], v[2:3], off offset:512
	global_load_dwordx4 v[18:21], v[2:3], off offset:1024
	global_load_dwordx4 v[22:25], v[2:3], off offset:1536
	s_waitcnt vmcnt(3) lgkmcnt(0)
	v_fma_mixlo_f16 v4, s14, v7, 0
	v_fma_mixlo_f16 v5, s14, v8, 0
	;; [unrolled: 1-line block ×4, first 2 shown]
	s_waitcnt vmcnt(2)
	v_fma_mixlo_f16 v9, s14, v11, 0
	v_fma_mixlo_f16 v10, s14, v12, 0
	;; [unrolled: 1-line block ×4, first 2 shown]
	s_waitcnt vmcnt(1)
	v_fma_mixlo_f16 v13, s14, v18, 0
	v_fma_mixlo_f16 v14, s14, v19, 0
	;; [unrolled: 1-line block ×3, first 2 shown]
	s_waitcnt vmcnt(0)
	v_fma_mixlo_f16 v19, s14, v22, 0
	v_fma_mixlo_f16 v20, s14, v23, 0
	v_lshlrev_b32_e32 v5, 16, v5
	v_and_b32_e32 v4, 0xffff, v4
	v_lshlrev_b32_e32 v8, 16, v8
	v_and_b32_e32 v7, 0xffff, v7
	;; [unrolled: 2-line block ×3, first 2 shown]
	v_fma_mixlo_f16 v18, s14, v21, 0
	v_fma_mixlo_f16 v21, s14, v24, 0
	;; [unrolled: 1-line block ×3, first 2 shown]
	v_lshlrev_b32_e32 v12, 16, v12
	v_and_b32_e32 v11, 0xffff, v11
	v_lshlrev_b32_e32 v14, 16, v14
	v_and_b32_e32 v13, 0xffff, v13
	;; [unrolled: 2-line block ×3, first 2 shown]
	v_or_b32_e32 v4, v5, v4
	v_or3_b32 v5, v8, v7, 0
	v_or_b32_e32 v7, v10, v9
	v_lshlrev_b32_e32 v18, 16, v18
	v_and_b32_e32 v16, 0xffff, v16
	v_lshlrev_b32_e32 v22, 16, v22
	v_and_b32_e32 v21, 0xffff, v21
	v_or3_b32 v9, v12, v11, 0
	v_or_b32_e32 v10, v14, v13
	v_or_b32_e32 v12, v20, v19
	v_or3_b32 v4, 0, 0, v4
	v_or3_b32 v8, 0, 0, v7
	v_add_nc_u32_e32 v7, v32, v33
	v_or3_b32 v11, v18, v16, 0
	v_or3_b32 v13, v22, v21, 0
	;; [unrolled: 1-line block ×4, first 2 shown]
	ds_write2_b64 v15, v[4:5], v[8:9] offset1:32
	ds_write2_b64 v15, v[10:11], v[12:13] offset0:64 offset1:96
	s_and_saveexec_b32 s1, vcc_lo
	s_cbranch_execz .LBB25_4
; %bb.3:
	v_add_co_u32 v4, s0, 0x800, v2
	v_add_co_ci_u32_e64 v5, null, 0, v3, s0
	global_load_dwordx4 v[8:11], v[4:5], off
	s_waitcnt vmcnt(0)
	v_fma_mixlo_f16 v4, s14, v9, 0
	v_fma_mixlo_f16 v5, s14, v8, 0
	;; [unrolled: 1-line block ×4, first 2 shown]
	v_lshlrev_b32_e32 v4, 16, v4
	v_and_b32_e32 v5, 0xffff, v5
	v_and_b32_e32 v8, 0xffff, v8
	v_lshlrev_b32_e32 v9, 16, v9
	v_or_b32_e32 v4, v4, v5
	v_or3_b32 v5, v9, v8, 0
	v_or3_b32 v4, 0, 0, v4
	ds_write_b64 v7, v[4:5] offset:1024
.LBB25_4:
	s_or_b32 exec_lo, exec_lo, s1
	s_and_b32 s0, s25, -4
	s_ashr_i32 s1, s25, 31
	v_add_co_u32 v4, s0, v2, s0
	v_add_co_ci_u32_e64 v5, null, s1, v3, s0
	s_mov_b32 s0, s25
	s_clause 0x3
	global_load_dwordx4 v[8:11], v[4:5], off
	global_load_dwordx4 v[12:15], v[4:5], off offset:512
	global_load_dwordx4 v[18:21], v[4:5], off offset:1024
	;; [unrolled: 1-line block ×3, first 2 shown]
	s_lshr_b64 s[8:9], s[0:1], 2
	s_waitcnt vmcnt(3)
	v_fma_mixlo_f16 v8, s14, v8, 0
	v_fma_mixlo_f16 v9, s14, v9, 0
	v_fma_mixlo_f16 v10, s14, v10, 0
	v_fma_mixlo_f16 v11, s14, v11, 0
	s_waitcnt vmcnt(2)
	v_fma_mixlo_f16 v12, s14, v12, 0
	v_fma_mixlo_f16 v13, s14, v13, 0
	v_fma_mixlo_f16 v14, s14, v14, 0
	v_fma_mixlo_f16 v15, s14, v15, 0
	;; [unrolled: 5-line block ×3, first 2 shown]
	s_waitcnt vmcnt(0)
	v_fma_mixlo_f16 v21, s14, v22, 0
	v_fma_mixlo_f16 v22, s14, v23, 0
	v_lshlrev_b32_e32 v9, 16, v9
	v_and_b32_e32 v8, 0xffff, v8
	v_lshlrev_b32_e32 v11, 16, v11
	v_and_b32_e32 v10, 0xffff, v10
	;; [unrolled: 2-line block ×3, first 2 shown]
	v_fma_mixlo_f16 v23, s14, v24, 0
	v_fma_mixlo_f16 v24, s14, v25, 0
	v_lshlrev_b32_e32 v15, 16, v15
	v_and_b32_e32 v14, 0xffff, v14
	v_lshlrev_b32_e32 v18, 16, v18
	v_and_b32_e32 v16, 0xffff, v16
	;; [unrolled: 2-line block ×3, first 2 shown]
	v_or_b32_e32 v8, v9, v8
	v_or3_b32 v9, v11, v10, 0
	v_or_b32_e32 v10, v13, v12
	v_lshlrev_b32_e32 v20, 16, v20
	v_and_b32_e32 v19, 0xffff, v19
	v_lshlrev_b32_e32 v24, 16, v24
	v_and_b32_e32 v23, 0xffff, v23
	v_or3_b32 v11, v15, v14, 0
	v_or_b32_e32 v12, v18, v16
	v_or_b32_e32 v14, v22, v21
	v_or3_b32 v8, 0, 0, v8
	v_or3_b32 v10, 0, 0, v10
	;; [unrolled: 1-line block ×6, first 2 shown]
	ds_write2_b64 v7, v[8:9], v[10:11] offset0:144 offset1:176
	ds_write2_b64 v7, v[12:13], v[14:15] offset0:208 offset1:240
	s_and_saveexec_b32 s1, vcc_lo
	s_cbranch_execz .LBB25_6
; %bb.5:
	v_add_co_u32 v4, s0, 0x800, v4
	v_add_co_ci_u32_e64 v5, null, 0, v5, s0
	global_load_dwordx4 v[8:11], v[4:5], off
	s_waitcnt vmcnt(0)
	v_fma_mixlo_f16 v4, s14, v9, 0
	v_fma_mixlo_f16 v5, s14, v8, 0
	;; [unrolled: 1-line block ×4, first 2 shown]
	v_lshlrev_b32_e32 v4, 16, v4
	v_and_b32_e32 v5, 0xffff, v5
	v_and_b32_e32 v8, 0xffff, v8
	v_lshlrev_b32_e32 v9, 16, v9
	v_or_b32_e32 v4, v4, v5
	v_or3_b32 v5, v9, v8, 0
	v_or3_b32 v4, 0, 0, v4
	ds_write_b64 v7, v[4:5] offset:2176
.LBB25_6:
	s_or_b32 exec_lo, exec_lo, s1
	s_lshl_b64 s[0:1], s[8:9], 3
	v_add_nc_u32_e32 v8, 0x800, v7
	v_add_co_u32 v4, s0, v2, s0
	v_add_co_ci_u32_e64 v5, null, s1, v3, s0
	s_clause 0x3
	global_load_dwordx4 v[9:12], v[4:5], off
	global_load_dwordx4 v[13:16], v[4:5], off offset:512
	global_load_dwordx4 v[18:21], v[4:5], off offset:1024
	;; [unrolled: 1-line block ×3, first 2 shown]
	s_waitcnt vmcnt(3)
	v_fma_mixlo_f16 v9, s14, v9, 0
	v_fma_mixlo_f16 v10, s14, v10, 0
	;; [unrolled: 1-line block ×4, first 2 shown]
	s_waitcnt vmcnt(2)
	v_fma_mixlo_f16 v13, s14, v13, 0
	v_fma_mixlo_f16 v14, s14, v14, 0
	;; [unrolled: 1-line block ×4, first 2 shown]
	s_waitcnt vmcnt(1)
	v_fma_mixlo_f16 v18, s14, v18, 0
	v_fma_mixlo_f16 v19, s14, v19, 0
	s_waitcnt vmcnt(0)
	v_fma_mixlo_f16 v22, s14, v22, 0
	v_fma_mixlo_f16 v23, s14, v23, 0
	v_lshlrev_b32_e32 v10, 16, v10
	v_and_b32_e32 v9, 0xffff, v9
	v_lshlrev_b32_e32 v12, 16, v12
	v_and_b32_e32 v11, 0xffff, v11
	;; [unrolled: 2-line block ×3, first 2 shown]
	v_fma_mixlo_f16 v20, s14, v20, 0
	v_fma_mixlo_f16 v21, s14, v21, 0
	;; [unrolled: 1-line block ×4, first 2 shown]
	v_lshlrev_b32_e32 v16, 16, v16
	v_and_b32_e32 v15, 0xffff, v15
	v_lshlrev_b32_e32 v19, 16, v19
	v_and_b32_e32 v18, 0xffff, v18
	;; [unrolled: 2-line block ×3, first 2 shown]
	v_or_b32_e32 v9, v10, v9
	v_or3_b32 v10, v12, v11, 0
	v_or_b32_e32 v11, v14, v13
	v_lshlrev_b32_e32 v21, 16, v21
	v_and_b32_e32 v20, 0xffff, v20
	v_lshlrev_b32_e32 v25, 16, v25
	v_and_b32_e32 v24, 0xffff, v24
	v_or3_b32 v12, v16, v15, 0
	v_or_b32_e32 v13, v19, v18
	v_or_b32_e32 v15, v23, v22
	v_or3_b32 v9, 0, 0, v9
	v_or3_b32 v11, 0, 0, v11
	;; [unrolled: 1-line block ×6, first 2 shown]
	ds_write2_b64 v8, v[9:10], v[11:12] offset0:32 offset1:64
	ds_write2_b64 v8, v[13:14], v[15:16] offset0:96 offset1:128
	s_and_saveexec_b32 s1, vcc_lo
	s_cbranch_execz .LBB25_8
; %bb.7:
	v_add_co_u32 v4, s0, 0x800, v4
	v_add_co_ci_u32_e64 v5, null, 0, v5, s0
	global_load_dwordx4 v[9:12], v[4:5], off
	s_waitcnt vmcnt(0)
	v_fma_mixlo_f16 v4, s14, v10, 0
	v_fma_mixlo_f16 v5, s14, v9, 0
	;; [unrolled: 1-line block ×4, first 2 shown]
	v_lshlrev_b32_e32 v4, 16, v4
	v_and_b32_e32 v5, 0xffff, v5
	v_and_b32_e32 v9, 0xffff, v9
	v_lshlrev_b32_e32 v10, 16, v10
	v_or_b32_e32 v4, v4, v5
	v_or3_b32 v5, v10, v9, 0
	v_or3_b32 v4, 0, 0, v4
	ds_write_b64 v7, v[4:5] offset:3328
.LBB25_8:
	s_or_b32 exec_lo, exec_lo, s1
	v_mad_u64_u32 v[2:3], null, s8, 12, v[2:3]
	v_add_nc_u32_e32 v26, 0xc00, v7
	v_mad_u64_u32 v[3:4], null, s9, 12, v[3:4]
	s_clause 0x3
	global_load_dwordx4 v[9:12], v[2:3], off
	global_load_dwordx4 v[13:16], v[2:3], off offset:512
	global_load_dwordx4 v[18:21], v[2:3], off offset:1024
	;; [unrolled: 1-line block ×3, first 2 shown]
	s_waitcnt vmcnt(3)
	v_fma_mixlo_f16 v4, s14, v9, 0
	v_fma_mixlo_f16 v5, s14, v10, 0
	v_fma_mixlo_f16 v9, s14, v11, 0
	v_fma_mixlo_f16 v10, s14, v12, 0
	s_waitcnt vmcnt(2)
	v_fma_mixlo_f16 v11, s14, v13, 0
	v_fma_mixlo_f16 v12, s14, v14, 0
	v_fma_mixlo_f16 v13, s14, v15, 0
	v_fma_mixlo_f16 v14, s14, v16, 0
	;; [unrolled: 5-line block ×3, first 2 shown]
	s_waitcnt vmcnt(0)
	v_fma_mixlo_f16 v20, s14, v22, 0
	v_fma_mixlo_f16 v21, s14, v23, 0
	v_lshlrev_b32_e32 v5, 16, v5
	v_and_b32_e32 v4, 0xffff, v4
	v_lshlrev_b32_e32 v10, 16, v10
	v_and_b32_e32 v9, 0xffff, v9
	;; [unrolled: 2-line block ×3, first 2 shown]
	v_fma_mixlo_f16 v22, s14, v24, 0
	v_fma_mixlo_f16 v23, s14, v25, 0
	v_lshlrev_b32_e32 v14, 16, v14
	v_and_b32_e32 v13, 0xffff, v13
	v_lshlrev_b32_e32 v16, 16, v16
	v_and_b32_e32 v15, 0xffff, v15
	;; [unrolled: 2-line block ×3, first 2 shown]
	v_or_b32_e32 v4, v5, v4
	v_or3_b32 v5, v10, v9, 0
	v_or_b32_e32 v9, v12, v11
	v_lshlrev_b32_e32 v19, 16, v19
	v_and_b32_e32 v18, 0xffff, v18
	v_lshlrev_b32_e32 v23, 16, v23
	v_and_b32_e32 v22, 0xffff, v22
	v_or3_b32 v10, v14, v13, 0
	v_or_b32_e32 v11, v16, v15
	v_or_b32_e32 v13, v21, v20
	v_or3_b32 v4, 0, 0, v4
	v_or3_b32 v9, 0, 0, v9
	v_or3_b32 v12, v19, v18, 0
	v_or3_b32 v14, v23, v22, 0
	v_or3_b32 v11, 0, 0, v11
	v_or3_b32 v13, 0, 0, v13
	ds_write2_b64 v8, v[4:5], v[9:10] offset0:176 offset1:208
	ds_write2_b64 v26, v[11:12], v[13:14] offset0:112 offset1:144
	s_and_saveexec_b32 s0, vcc_lo
	s_cbranch_execz .LBB25_10
; %bb.9:
	v_add_co_u32 v2, vcc_lo, 0x800, v2
	v_add_co_ci_u32_e64 v3, null, 0, v3, vcc_lo
	global_load_dwordx4 v[2:5], v[2:3], off
	s_waitcnt vmcnt(0)
	v_fma_mixlo_f16 v3, s14, v3, 0
	v_fma_mixlo_f16 v2, s14, v2, 0
	;; [unrolled: 1-line block ×4, first 2 shown]
	v_lshlrev_b32_e32 v3, 16, v3
	v_and_b32_e32 v2, 0xffff, v2
	v_and_b32_e32 v4, 0xffff, v4
	v_lshlrev_b32_e32 v5, 16, v5
	v_or_b32_e32 v2, v3, v2
	v_or3_b32 v3, v5, v4, 0
	v_or3_b32 v2, 0, 0, v2
	ds_write_b64 v7, v[2:3] offset:4480
.LBB25_10:
	s_or_b32 exec_lo, exec_lo, s0
	s_cmp_eq_u64 s[18:19], 0
	s_waitcnt lgkmcnt(0)
	s_barrier
	buffer_gl0_inv
	s_cbranch_scc1 .LBB25_12
; %bb.11:
	s_load_dword s0, s[4:5], 0xd0
	s_mov_b32 s1, 0
	s_waitcnt lgkmcnt(0)
	s_mul_i32 s0, s0, s29
	s_add_i32 s0, s0, s6
	s_lshl_b64 s[0:1], s[0:1], 2
	s_add_u32 s0, s18, s0
	s_addc_u32 s1, s19, s1
	s_load_dword s34, s[0:1], 0x0
.LBB25_12:
	v_lshlrev_b32_e32 v31, 2, v0
	v_mbcnt_lo_u32_b32 v35, -1, 0
	s_lshl_b32 s8, s28, 7
	s_waitcnt lgkmcnt(0)
	s_cmp_lt_i32 s8, s34
	s_cbranch_scc1 .LBB25_15
; %bb.13:
	v_mbcnt_lo_u32_b32 v5, -1, 0
	v_mov_b32_e32 v34, 32
	v_xor_b32_e32 v13, 16, v5
	v_xor_b32_e32 v12, 8, v5
	v_xor_b32_e32 v11, 4, v5
	v_xor_b32_e32 v10, 2, v5
	v_xor_b32_e32 v9, 1, v5
	s_mov_b32 s1, 0
	s_cbranch_execz .LBB25_16
; %bb.14:
	v_mov_b32_e32 v67, 0
	v_mov_b32_e32 v80, 0
	;; [unrolled: 1-line block ×40, first 2 shown]
	s_branch .LBB25_88
.LBB25_15:
                                        ; implicit-def: $vgpr5
                                        ; implicit-def: $vgpr34
                                        ; implicit-def: $vgpr13
                                        ; implicit-def: $vgpr12
                                        ; implicit-def: $vgpr11
                                        ; implicit-def: $vgpr10
                                        ; implicit-def: $vgpr9
	s_mov_b32 s1, 0
.LBB25_16:
	s_clause 0x1
	s_load_dwordx4 s[24:27], s[4:5], 0x98
	s_load_dwordx2 s[14:15], s[4:5], 0x8c
	s_sub_i32 s0, 0, s7
	s_abs_i32 s6, s30
	s_mul_i32 s0, s0, s33
	s_ashr_i32 s35, s30, 31
	s_mul_hi_u32 s0, s33, s0
	s_ashr_i32 s31, s31, 31
	s_add_i32 s33, s33, s0
	s_ashr_i32 s38, s39, 1
	s_mul_hi_u32 s0, s6, s33
	s_ashr_i32 s33, s29, 31
	s_mul_i32 s39, s0, s7
	s_load_dwordx2 s[18:19], s[4:5], 0xa8
	v_lshrrev_b32_e32 v2, 3, v0
	v_and_b32_e32 v15, 28, v31
	v_lshlrev_b32_e32 v12, 10, v1
	v_mov_b32_e32 v48, 0
	v_mov_b32_e32 v88, 0xfeffffff
	v_lshl_add_u32 v3, v1, 2, v2
	s_waitcnt lgkmcnt(0)
	s_ashr_i32 s9, s26, 2
	s_mul_hi_u32 s26, s24, s29
	s_mul_i32 s40, s24, s33
	s_mul_i32 s25, s25, s29
	s_add_i32 s26, s26, s40
	s_mul_i32 s24, s24, s29
	s_ashr_i32 s14, s14, 2
	s_add_i32 s26, s26, s25
	s_add_u32 s10, s10, s24
	s_addc_u32 s11, s11, s26
	s_sub_i32 s6, s6, s39
	s_xor_b32 s24, s35, s31
	s_add_i32 s25, s0, 1
	s_sub_i32 s26, s6, s7
	s_cmp_ge_u32 s6, s7
	v_mul_lo_u32 v2, s14, v3
	s_cselect_b32 s0, s25, s0
	s_cselect_b32 s6, s26, s6
	s_add_i32 s25, s0, 1
	s_cmp_ge_u32 s6, s7
	v_lshlrev_b32_e32 v4, 2, v15
	s_cselect_b32 s0, s25, s0
	v_mul_lo_u32 v11, s9, v1
	s_xor_b32 s0, s0, s24
	v_lshl_add_u32 v1, v31, 2, v12
	s_sub_i32 s0, s0, s24
	v_mad_u32_u24 v10, 0x90, v3, v4
	s_mul_i32 s15, s0, s15
	s_mul_i32 s0, s0, s27
	s_ashr_i32 s24, s15, 31
	s_add_u32 s10, s10, s15
	s_load_dword s15, s[4:5], 0x54
	s_mul_hi_u32 s6, s18, s29
	s_mul_i32 s7, s18, s33
	s_mul_i32 s19, s19, s29
	s_addc_u32 s11, s11, s24
	s_add_i32 s6, s6, s7
	s_mul_i32 s7, s18, s29
	s_add_i32 s6, s6, s19
	s_add_u32 s7, s12, s7
	s_addc_u32 s6, s13, s6
	s_ashr_i32 s13, s0, 31
	s_add_u32 s12, s7, s0
	s_addc_u32 s13, s6, s13
	s_lshl_b32 s0, s14, 5
	v_lshl_add_u32 v13, s9, 3, v11
	v_add_nc_u32_e32 v4, s0, v2
	v_add_nc_u32_e32 v36, 0x9000, v10
	v_ashrrev_i32_e32 v3, 31, v2
	v_add_nc_u32_e32 v37, 0xa200, v10
	v_add_nc_u32_e32 v38, 0xb400, v10
	;; [unrolled: 1-line block ×3, first 2 shown]
	v_ashrrev_i32_e32 v5, 31, v4
	v_add_nc_u32_e32 v39, 0xc600, v10
	v_add_nc_u32_e32 v41, 0xd800, v12
	v_ashrrev_i32_e32 v12, 31, v11
	v_add_nc_u32_e32 v9, s0, v7
	v_ashrrev_i32_e32 v8, 31, v7
	v_ashrrev_i32_e32 v14, 31, v13
	v_mad_u64_u32 v[18:19], null, v6, s38, v[0:1]
	v_ashrrev_i32_e32 v10, 31, v9
	s_mov_b32 s6, 0x9000
	v_lshlrev_b64 v[19:20], 2, v[2:3]
	v_lshlrev_b64 v[21:22], 2, v[4:5]
	v_lshlrev_b64 v[23:24], 2, v[7:8]
	v_lshlrev_b64 v[25:26], 2, v[9:10]
	v_lshlrev_b64 v[27:28], 2, v[11:12]
	v_lshlrev_b64 v[29:30], 2, v[13:14]
	v_mad_u32_u24 v40, 0x90, v0, s6
	v_add_nc_u32_e32 v42, 0x9000, v1
	v_add_nc_u32_e32 v43, 0x9200, v1
	;; [unrolled: 1-line block ×4, first 2 shown]
	v_lshlrev_b32_e32 v46, 2, v15
	v_mov_b32_e32 v34, 32
	v_mov_b32_e32 v47, 0x10001
	v_mov_b32_e32 v49, 0
	v_mov_b32_e32 v52, 0
	v_mov_b32_e32 v51, 0
	v_mov_b32_e32 v54, 0
	v_mov_b32_e32 v50, 0
	v_mov_b32_e32 v55, 0
	v_mov_b32_e32 v53, 0
	v_mov_b32_e32 v57, 0
	v_mov_b32_e32 v56, 0
	v_mov_b32_e32 v60, 0
	v_mov_b32_e32 v59, 0
	v_mov_b32_e32 v61, 0
	v_mov_b32_e32 v62, 0
	v_mov_b32_e32 v63, 0
	v_mov_b32_e32 v58, 0
	v_mov_b32_e32 v65, 0
	v_mov_b32_e32 v66, 0
	v_mov_b32_e32 v70, 0
	v_mov_b32_e32 v68, 0
	v_mov_b32_e32 v71, 0
	v_mov_b32_e32 v69, 0
	v_mov_b32_e32 v72, 0
	v_mov_b32_e32 v64, 0
	v_mov_b32_e32 v74, 0
	v_mov_b32_e32 v73, 0
	v_mov_b32_e32 v77, 0
	v_mov_b32_e32 v75, 0
	v_mov_b32_e32 v79, 0
	v_mov_b32_e32 v76, 0
	v_mov_b32_e32 v78, 0
	v_mov_b32_e32 v67, 0
	v_mov_b32_e32 v86, 0xfeffffff
	v_mov_b32_e32 v84, 0xfeffffff
	v_mov_b32_e32 v82, 0xfeffffff
	v_mov_b32_e32 v87, 0
	v_mov_b32_e32 v85, 0
	v_mov_b32_e32 v83, 0
	v_mov_b32_e32 v81, 0
	s_add_u32 s6, s4, 0xd0
	s_addc_u32 s7, s5, 0
	s_mov_b32 s18, 0xbbbac73d
.LBB25_17:                              ; =>This Loop Header: Depth=1
                                        ;     Child Loop BB25_19 Depth 2
	s_mul_hi_i32 s25, s8, s14
	s_mul_i32 s24, s8, s14
	v_mov_b32_e32 v100, 0
	s_lshl_b64 s[24:25], s[24:25], 2
	v_mov_b32_e32 v98, 0
	v_mov_b32_e32 v92, 0
	;; [unrolled: 1-line block ×15, first 2 shown]
	s_add_u32 s19, s10, s24
	s_addc_u32 s24, s11, s25
	s_mov_b32 s25, 0
	s_branch .LBB25_19
.LBB25_18:                              ;   in Loop: Header=BB25_19 Depth=2
	s_andn2_b32 vcc_lo, exec_lo, s0
	s_cbranch_vccz .LBB25_21
.LBB25_19:                              ;   Parent Loop BB25_17 Depth=1
                                        ; =>  This Inner Loop Header: Depth=2
	s_lshr_b32 s0, s25, 1
	v_lshl_add_u32 v104, s25, 1, v33
	s_lshl_b64 s[26:27], s[0:1], 2
	s_add_u32 s0, s19, s26
	s_addc_u32 s26, s24, s27
	v_add_co_u32 v1, vcc_lo, s0, v19
	v_add_co_ci_u32_e64 v2, null, s26, v20, vcc_lo
	v_add_co_u32 v3, vcc_lo, s0, v21
	v_add_co_ci_u32_e64 v4, null, s26, v22, vcc_lo
	;; [unrolled: 2-line block ×8, first 2 shown]
	s_clause 0x3
	global_load_dwordx4 v[1:4], v[1:2], off
	global_load_dwordx4 v[5:8], v[5:6], off
	;; [unrolled: 1-line block ×4, first 2 shown]
	s_add_i32 s26, s25, 64
	s_waitcnt vmcnt(3)
	ds_write_b128 v36, v[1:4]
	s_waitcnt vmcnt(2)
	ds_write_b128 v37, v[5:8]
	s_waitcnt vmcnt(1)
	ds_write_b128 v38, v[9:12]
	s_waitcnt vmcnt(0)
	ds_write_b128 v39, v[13:16]
	s_waitcnt lgkmcnt(0)
	s_barrier
	buffer_gl0_inv
	ds_read_b128 v[1:4], v40
	ds_read_b128 v[5:8], v104
	ds_read_b128 v[9:12], v104 offset:1152
	ds_read_b128 v[13:16], v104 offset:2304
	;; [unrolled: 1-line block ×6, first 2 shown]
	s_waitcnt lgkmcnt(6)
	;;#ASMSTART
	v_dot2_f32_f16 v100, v1, v5, v100
	;;#ASMEND
	;;#ASMSTART
	v_dot2_f32_f16 v100, v2, v6, v100
	;;#ASMEND
	;;#ASMSTART
	v_dot2_f32_f16 v100, v3, v7, v100
	;;#ASMEND
	;;#ASMSTART
	v_dot2_f32_f16 v100, v4, v8, v100
	;;#ASMEND
	s_waitcnt lgkmcnt(5)
	;;#ASMSTART
	v_dot2_f32_f16 v98, v1, v9, v98
	;;#ASMEND
	;;#ASMSTART
	v_dot2_f32_f16 v98, v2, v10, v98
	;;#ASMEND
	;;#ASMSTART
	v_dot2_f32_f16 v98, v3, v11, v98
	;;#ASMEND
	;;#ASMSTART
	v_dot2_f32_f16 v98, v4, v12, v98
	;;#ASMEND
	;; [unrolled: 13-line block ×5, first 2 shown]
	;;#ASMSTART
	v_dot2_f32_f16 v99, v109, v9, v99
	;;#ASMEND
	;;#ASMSTART
	v_dot2_f32_f16 v99, v110, v10, v99
	;;#ASMEND
	;; [unrolled: 3-line block ×12, first 2 shown]
	s_waitcnt lgkmcnt(1)
	;;#ASMSTART
	v_dot2_f32_f16 v102, v113, v5, v102
	;;#ASMEND
	;;#ASMSTART
	v_dot2_f32_f16 v102, v114, v6, v102
	;;#ASMEND
	;; [unrolled: 3-line block ×16, first 2 shown]
	s_waitcnt lgkmcnt(0)
	;;#ASMSTART
	v_dot2_f32_f16 v103, v117, v5, v103
	;;#ASMEND
	;;#ASMSTART
	v_dot2_f32_f16 v103, v118, v6, v103
	;;#ASMEND
	;; [unrolled: 3-line block ×16, first 2 shown]
	ds_read_b128 v[1:4], v40 offset:16
	ds_read_b128 v[5:8], v104 offset:16
	;; [unrolled: 1-line block ×8, first 2 shown]
	s_waitcnt lgkmcnt(6)
	;;#ASMSTART
	v_dot2_f32_f16 v100, v1, v5, v100
	;;#ASMEND
	;;#ASMSTART
	v_dot2_f32_f16 v100, v2, v6, v100
	;;#ASMEND
	;;#ASMSTART
	v_dot2_f32_f16 v100, v3, v7, v100
	;;#ASMEND
	;;#ASMSTART
	v_dot2_f32_f16 v100, v4, v8, v100
	;;#ASMEND
	s_waitcnt lgkmcnt(5)
	;;#ASMSTART
	v_dot2_f32_f16 v98, v1, v9, v98
	;;#ASMEND
	;;#ASMSTART
	v_dot2_f32_f16 v98, v2, v10, v98
	;;#ASMEND
	;;#ASMSTART
	v_dot2_f32_f16 v98, v3, v11, v98
	;;#ASMEND
	;;#ASMSTART
	v_dot2_f32_f16 v98, v4, v12, v98
	;;#ASMEND
	;; [unrolled: 13-line block ×5, first 2 shown]
	;;#ASMSTART
	v_dot2_f32_f16 v99, v109, v9, v99
	;;#ASMEND
	;;#ASMSTART
	v_dot2_f32_f16 v99, v110, v10, v99
	;;#ASMEND
	;; [unrolled: 3-line block ×12, first 2 shown]
	s_waitcnt lgkmcnt(1)
	;;#ASMSTART
	v_dot2_f32_f16 v102, v113, v5, v102
	;;#ASMEND
	;;#ASMSTART
	v_dot2_f32_f16 v102, v114, v6, v102
	;;#ASMEND
	;; [unrolled: 3-line block ×16, first 2 shown]
	s_waitcnt lgkmcnt(0)
	;;#ASMSTART
	v_dot2_f32_f16 v103, v117, v5, v103
	;;#ASMEND
	;;#ASMSTART
	v_dot2_f32_f16 v103, v118, v6, v103
	;;#ASMEND
	;; [unrolled: 3-line block ×16, first 2 shown]
	ds_read_b128 v[1:4], v40 offset:32
	ds_read_b128 v[5:8], v104 offset:32
	;; [unrolled: 1-line block ×8, first 2 shown]
	s_waitcnt lgkmcnt(6)
	;;#ASMSTART
	v_dot2_f32_f16 v100, v1, v5, v100
	;;#ASMEND
	;;#ASMSTART
	v_dot2_f32_f16 v100, v2, v6, v100
	;;#ASMEND
	;;#ASMSTART
	v_dot2_f32_f16 v100, v3, v7, v100
	;;#ASMEND
	;;#ASMSTART
	v_dot2_f32_f16 v100, v4, v8, v100
	;;#ASMEND
	s_waitcnt lgkmcnt(5)
	;;#ASMSTART
	v_dot2_f32_f16 v98, v1, v9, v98
	;;#ASMEND
	;;#ASMSTART
	v_dot2_f32_f16 v98, v2, v10, v98
	;;#ASMEND
	;;#ASMSTART
	v_dot2_f32_f16 v98, v3, v11, v98
	;;#ASMEND
	;;#ASMSTART
	v_dot2_f32_f16 v98, v4, v12, v98
	;;#ASMEND
	;; [unrolled: 13-line block ×5, first 2 shown]
	;;#ASMSTART
	v_dot2_f32_f16 v99, v109, v9, v99
	;;#ASMEND
	;;#ASMSTART
	v_dot2_f32_f16 v99, v110, v10, v99
	;;#ASMEND
	;; [unrolled: 3-line block ×12, first 2 shown]
	s_waitcnt lgkmcnt(1)
	;;#ASMSTART
	v_dot2_f32_f16 v102, v113, v5, v102
	;;#ASMEND
	;;#ASMSTART
	v_dot2_f32_f16 v102, v114, v6, v102
	;;#ASMEND
	;; [unrolled: 3-line block ×16, first 2 shown]
	s_waitcnt lgkmcnt(0)
	;;#ASMSTART
	v_dot2_f32_f16 v103, v117, v5, v103
	;;#ASMEND
	;;#ASMSTART
	v_dot2_f32_f16 v103, v118, v6, v103
	;;#ASMEND
	;; [unrolled: 3-line block ×16, first 2 shown]
	ds_read_b128 v[1:4], v40 offset:48
	ds_read_b128 v[5:8], v104 offset:48
	;; [unrolled: 1-line block ×8, first 2 shown]
	s_waitcnt lgkmcnt(6)
	;;#ASMSTART
	v_dot2_f32_f16 v100, v1, v5, v100
	;;#ASMEND
	;;#ASMSTART
	v_dot2_f32_f16 v100, v2, v6, v100
	;;#ASMEND
	;;#ASMSTART
	v_dot2_f32_f16 v100, v3, v7, v100
	;;#ASMEND
	;;#ASMSTART
	v_dot2_f32_f16 v100, v4, v8, v100
	;;#ASMEND
	s_waitcnt lgkmcnt(5)
	;;#ASMSTART
	v_dot2_f32_f16 v98, v1, v9, v98
	;;#ASMEND
	;;#ASMSTART
	v_dot2_f32_f16 v98, v2, v10, v98
	;;#ASMEND
	;;#ASMSTART
	v_dot2_f32_f16 v98, v3, v11, v98
	;;#ASMEND
	;;#ASMSTART
	v_dot2_f32_f16 v98, v4, v12, v98
	;;#ASMEND
	;; [unrolled: 13-line block ×5, first 2 shown]
	;;#ASMSTART
	v_dot2_f32_f16 v99, v109, v9, v99
	;;#ASMEND
	;;#ASMSTART
	v_dot2_f32_f16 v99, v110, v10, v99
	;;#ASMEND
	;; [unrolled: 3-line block ×12, first 2 shown]
	s_waitcnt lgkmcnt(1)
	;;#ASMSTART
	v_dot2_f32_f16 v102, v113, v5, v102
	;;#ASMEND
	;;#ASMSTART
	v_dot2_f32_f16 v102, v114, v6, v102
	;;#ASMEND
	;; [unrolled: 3-line block ×16, first 2 shown]
	s_waitcnt lgkmcnt(0)
	;;#ASMSTART
	v_dot2_f32_f16 v103, v117, v5, v103
	;;#ASMEND
	;;#ASMSTART
	v_dot2_f32_f16 v103, v118, v6, v103
	;;#ASMEND
	;; [unrolled: 3-line block ×16, first 2 shown]
	ds_read_b128 v[1:4], v40 offset:64
	ds_read_b128 v[5:8], v104 offset:64
	;; [unrolled: 1-line block ×8, first 2 shown]
	s_waitcnt lgkmcnt(6)
	;;#ASMSTART
	v_dot2_f32_f16 v100, v1, v5, v100
	;;#ASMEND
	;;#ASMSTART
	v_dot2_f32_f16 v100, v2, v6, v100
	;;#ASMEND
	;;#ASMSTART
	v_dot2_f32_f16 v100, v3, v7, v100
	;;#ASMEND
	;;#ASMSTART
	v_dot2_f32_f16 v100, v4, v8, v100
	;;#ASMEND
	s_waitcnt lgkmcnt(5)
	;;#ASMSTART
	v_dot2_f32_f16 v98, v1, v9, v98
	;;#ASMEND
	;;#ASMSTART
	v_dot2_f32_f16 v98, v2, v10, v98
	;;#ASMEND
	;;#ASMSTART
	v_dot2_f32_f16 v98, v3, v11, v98
	;;#ASMEND
	;;#ASMSTART
	v_dot2_f32_f16 v98, v4, v12, v98
	;;#ASMEND
	;; [unrolled: 13-line block ×5, first 2 shown]
	;;#ASMSTART
	v_dot2_f32_f16 v99, v109, v9, v99
	;;#ASMEND
	;;#ASMSTART
	v_dot2_f32_f16 v99, v110, v10, v99
	;;#ASMEND
	;; [unrolled: 3-line block ×12, first 2 shown]
	s_waitcnt lgkmcnt(1)
	;;#ASMSTART
	v_dot2_f32_f16 v102, v113, v5, v102
	;;#ASMEND
	;;#ASMSTART
	v_dot2_f32_f16 v102, v114, v6, v102
	;;#ASMEND
	;; [unrolled: 3-line block ×16, first 2 shown]
	s_waitcnt lgkmcnt(0)
	;;#ASMSTART
	v_dot2_f32_f16 v103, v117, v5, v103
	;;#ASMEND
	;;#ASMSTART
	v_dot2_f32_f16 v103, v118, v6, v103
	;;#ASMEND
	;; [unrolled: 3-line block ×16, first 2 shown]
	ds_read_b128 v[13:16], v40 offset:80
	ds_read_b128 v[1:4], v104 offset:80
	;; [unrolled: 1-line block ×8, first 2 shown]
	s_waitcnt lgkmcnt(6)
	;;#ASMSTART
	v_dot2_f32_f16 v100, v13, v1, v100
	;;#ASMEND
	;;#ASMSTART
	v_dot2_f32_f16 v100, v14, v2, v100
	;;#ASMEND
	;;#ASMSTART
	v_dot2_f32_f16 v100, v15, v3, v100
	;;#ASMEND
	;;#ASMSTART
	v_dot2_f32_f16 v100, v16, v4, v100
	;;#ASMEND
	s_waitcnt lgkmcnt(5)
	;;#ASMSTART
	v_dot2_f32_f16 v98, v13, v5, v98
	;;#ASMEND
	;;#ASMSTART
	v_dot2_f32_f16 v98, v14, v6, v98
	;;#ASMEND
	;;#ASMSTART
	v_dot2_f32_f16 v98, v15, v7, v98
	;;#ASMEND
	;;#ASMSTART
	v_dot2_f32_f16 v98, v16, v8, v98
	;;#ASMEND
	;; [unrolled: 13-line block ×5, first 2 shown]
	;;#ASMSTART
	v_dot2_f32_f16 v99, v109, v5, v99
	;;#ASMEND
	;;#ASMSTART
	v_dot2_f32_f16 v99, v110, v6, v99
	;;#ASMEND
	;; [unrolled: 3-line block ×12, first 2 shown]
	s_waitcnt lgkmcnt(1)
	;;#ASMSTART
	v_dot2_f32_f16 v102, v113, v1, v102
	;;#ASMEND
	;;#ASMSTART
	v_dot2_f32_f16 v102, v114, v2, v102
	;;#ASMEND
	;; [unrolled: 3-line block ×16, first 2 shown]
	s_waitcnt lgkmcnt(0)
	;;#ASMSTART
	v_dot2_f32_f16 v103, v117, v1, v103
	;;#ASMEND
	;;#ASMSTART
	v_dot2_f32_f16 v103, v118, v2, v103
	;;#ASMEND
	;; [unrolled: 3-line block ×16, first 2 shown]
	ds_read_b128 v[1:4], v40 offset:96
	ds_read_b128 v[5:8], v104 offset:96
	;; [unrolled: 1-line block ×8, first 2 shown]
	s_waitcnt lgkmcnt(6)
	;;#ASMSTART
	v_dot2_f32_f16 v100, v1, v5, v100
	;;#ASMEND
	;;#ASMSTART
	v_dot2_f32_f16 v100, v2, v6, v100
	;;#ASMEND
	;;#ASMSTART
	v_dot2_f32_f16 v100, v3, v7, v100
	;;#ASMEND
	;;#ASMSTART
	v_dot2_f32_f16 v100, v4, v8, v100
	;;#ASMEND
	s_waitcnt lgkmcnt(5)
	;;#ASMSTART
	v_dot2_f32_f16 v98, v1, v9, v98
	;;#ASMEND
	;;#ASMSTART
	v_dot2_f32_f16 v98, v2, v10, v98
	;;#ASMEND
	;;#ASMSTART
	v_dot2_f32_f16 v98, v3, v11, v98
	;;#ASMEND
	;;#ASMSTART
	v_dot2_f32_f16 v98, v4, v12, v98
	;;#ASMEND
	;; [unrolled: 13-line block ×5, first 2 shown]
	;;#ASMSTART
	v_dot2_f32_f16 v99, v109, v9, v99
	;;#ASMEND
	;;#ASMSTART
	v_dot2_f32_f16 v99, v110, v10, v99
	;;#ASMEND
	;; [unrolled: 3-line block ×12, first 2 shown]
	s_waitcnt lgkmcnt(1)
	;;#ASMSTART
	v_dot2_f32_f16 v102, v113, v5, v102
	;;#ASMEND
	;;#ASMSTART
	v_dot2_f32_f16 v102, v114, v6, v102
	;;#ASMEND
	;; [unrolled: 3-line block ×16, first 2 shown]
	s_waitcnt lgkmcnt(0)
	;;#ASMSTART
	v_dot2_f32_f16 v103, v117, v5, v103
	;;#ASMEND
	;;#ASMSTART
	v_dot2_f32_f16 v103, v118, v6, v103
	;;#ASMEND
	;; [unrolled: 3-line block ×16, first 2 shown]
	ds_read_b128 v[1:4], v40 offset:112
	ds_read_b128 v[5:8], v104 offset:112
	;; [unrolled: 1-line block ×8, first 2 shown]
	s_waitcnt lgkmcnt(6)
	;;#ASMSTART
	v_dot2_f32_f16 v100, v1, v5, v100
	;;#ASMEND
	;;#ASMSTART
	v_dot2_f32_f16 v100, v2, v6, v100
	;;#ASMEND
	;;#ASMSTART
	v_dot2_f32_f16 v100, v3, v7, v100
	;;#ASMEND
	;;#ASMSTART
	v_dot2_f32_f16 v100, v4, v8, v100
	;;#ASMEND
	s_waitcnt lgkmcnt(5)
	;;#ASMSTART
	v_dot2_f32_f16 v98, v1, v9, v98
	;;#ASMEND
	;;#ASMSTART
	v_dot2_f32_f16 v98, v2, v10, v98
	;;#ASMEND
	;;#ASMSTART
	v_dot2_f32_f16 v98, v3, v11, v98
	;;#ASMEND
	;;#ASMSTART
	v_dot2_f32_f16 v98, v4, v12, v98
	;;#ASMEND
	;; [unrolled: 13-line block ×5, first 2 shown]
	;;#ASMSTART
	v_dot2_f32_f16 v99, v108, v9, v99
	;;#ASMEND
	;;#ASMSTART
	v_dot2_f32_f16 v99, v109, v10, v99
	;;#ASMEND
	;; [unrolled: 3-line block ×11, first 2 shown]
	s_lshr_b32 s0, s26, 1
	;;#ASMSTART
	v_dot2_f32_f16 v91, v111, v107, v91
	;;#ASMEND
	s_waitcnt lgkmcnt(1)
	;;#ASMSTART
	v_dot2_f32_f16 v102, v112, v5, v102
	;;#ASMEND
	;;#ASMSTART
	v_dot2_f32_f16 v102, v113, v6, v102
	;;#ASMEND
	s_lshl_b64 s[38:39], s[0:1], 2
	;;#ASMSTART
	v_dot2_f32_f16 v102, v114, v7, v102
	;;#ASMEND
	;;#ASMSTART
	v_dot2_f32_f16 v102, v115, v8, v102
	;;#ASMEND
	;; [unrolled: 3-line block ×3, first 2 shown]
	s_add_u32 s0, s19, s38
	;;#ASMSTART
	v_dot2_f32_f16 v96, v113, v10, v96
	;;#ASMEND
	;;#ASMSTART
	v_dot2_f32_f16 v96, v114, v11, v96
	;;#ASMEND
	s_addc_u32 s27, s24, s39
	v_add_co_u32 v121, vcc_lo, s0, v19
	;;#ASMSTART
	v_dot2_f32_f16 v96, v115, v12, v96
	;;#ASMEND
	;;#ASMSTART
	v_dot2_f32_f16 v95, v112, v13, v95
	;;#ASMEND
	;; [unrolled: 3-line block ×3, first 2 shown]
	v_add_co_ci_u32_e64 v122, null, s27, v20, vcc_lo
	v_add_co_u32 v123, vcc_lo, s0, v21
	;;#ASMSTART
	v_dot2_f32_f16 v95, v114, v15, v95
	;;#ASMEND
	;;#ASMSTART
	v_dot2_f32_f16 v95, v115, v16, v95
	;;#ASMEND
	;; [unrolled: 3-line block ×3, first 2 shown]
	v_add_co_ci_u32_e64 v124, null, s27, v22, vcc_lo
	v_add_co_u32 v125, vcc_lo, s0, v23
	;;#ASMSTART
	v_dot2_f32_f16 v89, v113, v105, v89
	;;#ASMEND
	;;#ASMSTART
	v_dot2_f32_f16 v89, v114, v106, v89
	;;#ASMEND
	v_add_co_ci_u32_e64 v126, null, s27, v24, vcc_lo
	v_add_co_u32 v127, vcc_lo, s0, v25
	;;#ASMSTART
	v_dot2_f32_f16 v89, v115, v107, v89
	;;#ASMEND
	s_waitcnt lgkmcnt(0)
	;;#ASMSTART
	v_dot2_f32_f16 v103, v116, v5, v103
	;;#ASMEND
	;;#ASMSTART
	v_dot2_f32_f16 v103, v117, v6, v103
	;;#ASMEND
	v_add_co_ci_u32_e64 v128, null, s27, v26, vcc_lo
	v_add_co_u32 v120, vcc_lo, v121, v46
	;;#ASMSTART
	v_dot2_f32_f16 v103, v118, v7, v103
	;;#ASMEND
	;;#ASMSTART
	v_dot2_f32_f16 v103, v119, v8, v103
	;;#ASMEND
	;;#ASMSTART
	v_dot2_f32_f16 v97, v116, v9, v97
	;;#ASMEND
	v_add_co_ci_u32_e64 v121, null, 0, v122, vcc_lo
	v_add_co_u32 v122, vcc_lo, v123, v46
	;;#ASMSTART
	v_dot2_f32_f16 v97, v117, v10, v97
	;;#ASMEND
	;;#ASMSTART
	v_dot2_f32_f16 v97, v118, v11, v97
	;;#ASMEND
	v_add_co_ci_u32_e64 v123, null, 0, v124, vcc_lo
	v_add_co_u32 v124, vcc_lo, v125, v46
	;;#ASMSTART
	v_dot2_f32_f16 v97, v119, v12, v97
	;;#ASMEND
	;;#ASMSTART
	v_dot2_f32_f16 v93, v116, v13, v93
	;;#ASMEND
	;; [unrolled: 3-line block ×3, first 2 shown]
	v_add_co_ci_u32_e64 v125, null, 0, v126, vcc_lo
	v_add_co_u32 v126, vcc_lo, v127, v46
	;;#ASMSTART
	v_dot2_f32_f16 v93, v118, v15, v93
	;;#ASMEND
	;;#ASMSTART
	v_dot2_f32_f16 v93, v119, v16, v93
	;;#ASMEND
	;;#ASMSTART
	v_dot2_f32_f16 v80, v116, v104, v80
	;;#ASMEND
	v_add_co_ci_u32_e64 v127, null, 0, v128, vcc_lo
	;;#ASMSTART
	v_dot2_f32_f16 v80, v117, v105, v80
	;;#ASMEND
	;;#ASMSTART
	v_dot2_f32_f16 v80, v118, v106, v80
	;;#ASMEND
	;; [unrolled: 3-line block ×3, first 2 shown]
	s_barrier
	buffer_gl0_inv
	s_clause 0x3
	global_load_dwordx4 v[1:4], v[120:121], off
	global_load_dwordx4 v[5:8], v[122:123], off
	;; [unrolled: 1-line block ×4, first 2 shown]
	v_lshl_add_u32 v104, s26, 1, v33
	s_add_i32 s26, s25, 0x80
	s_waitcnt vmcnt(3)
	ds_write_b128 v36, v[1:4]
	s_waitcnt vmcnt(2)
	ds_write_b128 v37, v[5:8]
	;; [unrolled: 2-line block ×4, first 2 shown]
	s_waitcnt lgkmcnt(0)
	s_barrier
	buffer_gl0_inv
	ds_read_b128 v[1:4], v40
	ds_read_b128 v[5:8], v104
	ds_read_b128 v[9:12], v104 offset:1152
	ds_read_b128 v[13:16], v104 offset:2304
	;; [unrolled: 1-line block ×6, first 2 shown]
	s_waitcnt lgkmcnt(6)
	;;#ASMSTART
	v_dot2_f32_f16 v100, v1, v5, v100
	;;#ASMEND
	;;#ASMSTART
	v_dot2_f32_f16 v100, v2, v6, v100
	;;#ASMEND
	;;#ASMSTART
	v_dot2_f32_f16 v100, v3, v7, v100
	;;#ASMEND
	;;#ASMSTART
	v_dot2_f32_f16 v100, v4, v8, v100
	;;#ASMEND
	s_waitcnt lgkmcnt(5)
	;;#ASMSTART
	v_dot2_f32_f16 v98, v1, v9, v98
	;;#ASMEND
	;;#ASMSTART
	v_dot2_f32_f16 v98, v2, v10, v98
	;;#ASMEND
	;;#ASMSTART
	v_dot2_f32_f16 v98, v3, v11, v98
	;;#ASMEND
	;;#ASMSTART
	v_dot2_f32_f16 v98, v4, v12, v98
	;;#ASMEND
	;; [unrolled: 13-line block ×5, first 2 shown]
	;;#ASMSTART
	v_dot2_f32_f16 v99, v109, v9, v99
	;;#ASMEND
	;;#ASMSTART
	v_dot2_f32_f16 v99, v110, v10, v99
	;;#ASMEND
	;; [unrolled: 3-line block ×12, first 2 shown]
	s_waitcnt lgkmcnt(1)
	;;#ASMSTART
	v_dot2_f32_f16 v102, v113, v5, v102
	;;#ASMEND
	;;#ASMSTART
	v_dot2_f32_f16 v102, v114, v6, v102
	;;#ASMEND
	;; [unrolled: 3-line block ×16, first 2 shown]
	s_waitcnt lgkmcnt(0)
	;;#ASMSTART
	v_dot2_f32_f16 v103, v117, v5, v103
	;;#ASMEND
	;;#ASMSTART
	v_dot2_f32_f16 v103, v118, v6, v103
	;;#ASMEND
	;; [unrolled: 3-line block ×16, first 2 shown]
	ds_read_b128 v[1:4], v40 offset:16
	ds_read_b128 v[5:8], v104 offset:16
	;; [unrolled: 1-line block ×8, first 2 shown]
	s_waitcnt lgkmcnt(6)
	;;#ASMSTART
	v_dot2_f32_f16 v100, v1, v5, v100
	;;#ASMEND
	;;#ASMSTART
	v_dot2_f32_f16 v100, v2, v6, v100
	;;#ASMEND
	;;#ASMSTART
	v_dot2_f32_f16 v100, v3, v7, v100
	;;#ASMEND
	;;#ASMSTART
	v_dot2_f32_f16 v100, v4, v8, v100
	;;#ASMEND
	s_waitcnt lgkmcnt(5)
	;;#ASMSTART
	v_dot2_f32_f16 v98, v1, v9, v98
	;;#ASMEND
	;;#ASMSTART
	v_dot2_f32_f16 v98, v2, v10, v98
	;;#ASMEND
	;;#ASMSTART
	v_dot2_f32_f16 v98, v3, v11, v98
	;;#ASMEND
	;;#ASMSTART
	v_dot2_f32_f16 v98, v4, v12, v98
	;;#ASMEND
	s_waitcnt lgkmcnt(4)
	;;#ASMSTART
	v_dot2_f32_f16 v92, v1, v13, v92
	;;#ASMEND
	;;#ASMSTART
	v_dot2_f32_f16 v92, v2, v14, v92
	;;#ASMEND
	;;#ASMSTART
	v_dot2_f32_f16 v92, v3, v15, v92
	;;#ASMEND
	;;#ASMSTART
	v_dot2_f32_f16 v92, v4, v16, v92
	;;#ASMEND
	s_waitcnt lgkmcnt(3)
	;;#ASMSTART
	v_dot2_f32_f16 v90, v1, v105, v90
	;;#ASMEND
	;;#ASMSTART
	v_dot2_f32_f16 v90, v2, v106, v90
	;;#ASMEND
	;;#ASMSTART
	v_dot2_f32_f16 v90, v3, v107, v90
	;;#ASMEND
	;;#ASMSTART
	v_dot2_f32_f16 v90, v4, v108, v90
	;;#ASMEND
	s_waitcnt lgkmcnt(2)
	;;#ASMSTART
	v_dot2_f32_f16 v101, v109, v5, v101
	;;#ASMEND
	;;#ASMSTART
	v_dot2_f32_f16 v101, v110, v6, v101
	;;#ASMEND
	;;#ASMSTART
	v_dot2_f32_f16 v101, v111, v7, v101
	;;#ASMEND
	;;#ASMSTART
	v_dot2_f32_f16 v101, v112, v8, v101
	;;#ASMEND
	;;#ASMSTART
	v_dot2_f32_f16 v99, v109, v9, v99
	;;#ASMEND
	;;#ASMSTART
	v_dot2_f32_f16 v99, v110, v10, v99
	;;#ASMEND
	;; [unrolled: 3-line block ×12, first 2 shown]
	s_waitcnt lgkmcnt(1)
	;;#ASMSTART
	v_dot2_f32_f16 v102, v113, v5, v102
	;;#ASMEND
	;;#ASMSTART
	v_dot2_f32_f16 v102, v114, v6, v102
	;;#ASMEND
	;; [unrolled: 3-line block ×16, first 2 shown]
	s_waitcnt lgkmcnt(0)
	;;#ASMSTART
	v_dot2_f32_f16 v103, v117, v5, v103
	;;#ASMEND
	;;#ASMSTART
	v_dot2_f32_f16 v103, v118, v6, v103
	;;#ASMEND
	;;#ASMSTART
	v_dot2_f32_f16 v103, v119, v7, v103
	;;#ASMEND
	;;#ASMSTART
	v_dot2_f32_f16 v103, v120, v8, v103
	;;#ASMEND
	;;#ASMSTART
	v_dot2_f32_f16 v97, v117, v9, v97
	;;#ASMEND
	;;#ASMSTART
	v_dot2_f32_f16 v97, v118, v10, v97
	;;#ASMEND
	;;#ASMSTART
	v_dot2_f32_f16 v97, v119, v11, v97
	;;#ASMEND
	;;#ASMSTART
	v_dot2_f32_f16 v97, v120, v12, v97
	;;#ASMEND
	;;#ASMSTART
	v_dot2_f32_f16 v93, v117, v13, v93
	;;#ASMEND
	;;#ASMSTART
	v_dot2_f32_f16 v93, v118, v14, v93
	;;#ASMEND
	;;#ASMSTART
	v_dot2_f32_f16 v93, v119, v15, v93
	;;#ASMEND
	;;#ASMSTART
	v_dot2_f32_f16 v93, v120, v16, v93
	;;#ASMEND
	;;#ASMSTART
	v_dot2_f32_f16 v80, v117, v105, v80
	;;#ASMEND
	;;#ASMSTART
	v_dot2_f32_f16 v80, v118, v106, v80
	;;#ASMEND
	;;#ASMSTART
	v_dot2_f32_f16 v80, v119, v107, v80
	;;#ASMEND
	;;#ASMSTART
	v_dot2_f32_f16 v80, v120, v108, v80
	;;#ASMEND
	ds_read_b128 v[1:4], v40 offset:32
	ds_read_b128 v[5:8], v104 offset:32
	;; [unrolled: 1-line block ×8, first 2 shown]
	s_waitcnt lgkmcnt(6)
	;;#ASMSTART
	v_dot2_f32_f16 v100, v1, v5, v100
	;;#ASMEND
	;;#ASMSTART
	v_dot2_f32_f16 v100, v2, v6, v100
	;;#ASMEND
	;;#ASMSTART
	v_dot2_f32_f16 v100, v3, v7, v100
	;;#ASMEND
	;;#ASMSTART
	v_dot2_f32_f16 v100, v4, v8, v100
	;;#ASMEND
	s_waitcnt lgkmcnt(5)
	;;#ASMSTART
	v_dot2_f32_f16 v98, v1, v9, v98
	;;#ASMEND
	;;#ASMSTART
	v_dot2_f32_f16 v98, v2, v10, v98
	;;#ASMEND
	;;#ASMSTART
	v_dot2_f32_f16 v98, v3, v11, v98
	;;#ASMEND
	;;#ASMSTART
	v_dot2_f32_f16 v98, v4, v12, v98
	;;#ASMEND
	;; [unrolled: 13-line block ×5, first 2 shown]
	;;#ASMSTART
	v_dot2_f32_f16 v99, v109, v9, v99
	;;#ASMEND
	;;#ASMSTART
	v_dot2_f32_f16 v99, v110, v10, v99
	;;#ASMEND
	;; [unrolled: 3-line block ×12, first 2 shown]
	s_waitcnt lgkmcnt(1)
	;;#ASMSTART
	v_dot2_f32_f16 v102, v113, v5, v102
	;;#ASMEND
	;;#ASMSTART
	v_dot2_f32_f16 v102, v114, v6, v102
	;;#ASMEND
	;; [unrolled: 3-line block ×16, first 2 shown]
	s_waitcnt lgkmcnt(0)
	;;#ASMSTART
	v_dot2_f32_f16 v103, v117, v5, v103
	;;#ASMEND
	;;#ASMSTART
	v_dot2_f32_f16 v103, v118, v6, v103
	;;#ASMEND
	;;#ASMSTART
	v_dot2_f32_f16 v103, v119, v7, v103
	;;#ASMEND
	;;#ASMSTART
	v_dot2_f32_f16 v103, v120, v8, v103
	;;#ASMEND
	;;#ASMSTART
	v_dot2_f32_f16 v97, v117, v9, v97
	;;#ASMEND
	;;#ASMSTART
	v_dot2_f32_f16 v97, v118, v10, v97
	;;#ASMEND
	;;#ASMSTART
	v_dot2_f32_f16 v97, v119, v11, v97
	;;#ASMEND
	;;#ASMSTART
	v_dot2_f32_f16 v97, v120, v12, v97
	;;#ASMEND
	;;#ASMSTART
	v_dot2_f32_f16 v93, v117, v13, v93
	;;#ASMEND
	;;#ASMSTART
	v_dot2_f32_f16 v93, v118, v14, v93
	;;#ASMEND
	;;#ASMSTART
	v_dot2_f32_f16 v93, v119, v15, v93
	;;#ASMEND
	;;#ASMSTART
	v_dot2_f32_f16 v93, v120, v16, v93
	;;#ASMEND
	;;#ASMSTART
	v_dot2_f32_f16 v80, v117, v105, v80
	;;#ASMEND
	;;#ASMSTART
	v_dot2_f32_f16 v80, v118, v106, v80
	;;#ASMEND
	;;#ASMSTART
	v_dot2_f32_f16 v80, v119, v107, v80
	;;#ASMEND
	;;#ASMSTART
	v_dot2_f32_f16 v80, v120, v108, v80
	;;#ASMEND
	ds_read_b128 v[1:4], v40 offset:48
	ds_read_b128 v[5:8], v104 offset:48
	;; [unrolled: 1-line block ×8, first 2 shown]
	s_waitcnt lgkmcnt(6)
	;;#ASMSTART
	v_dot2_f32_f16 v100, v1, v5, v100
	;;#ASMEND
	;;#ASMSTART
	v_dot2_f32_f16 v100, v2, v6, v100
	;;#ASMEND
	;;#ASMSTART
	v_dot2_f32_f16 v100, v3, v7, v100
	;;#ASMEND
	;;#ASMSTART
	v_dot2_f32_f16 v100, v4, v8, v100
	;;#ASMEND
	s_waitcnt lgkmcnt(5)
	;;#ASMSTART
	v_dot2_f32_f16 v98, v1, v9, v98
	;;#ASMEND
	;;#ASMSTART
	v_dot2_f32_f16 v98, v2, v10, v98
	;;#ASMEND
	;;#ASMSTART
	v_dot2_f32_f16 v98, v3, v11, v98
	;;#ASMEND
	;;#ASMSTART
	v_dot2_f32_f16 v98, v4, v12, v98
	;;#ASMEND
	;; [unrolled: 13-line block ×5, first 2 shown]
	;;#ASMSTART
	v_dot2_f32_f16 v99, v109, v9, v99
	;;#ASMEND
	;;#ASMSTART
	v_dot2_f32_f16 v99, v110, v10, v99
	;;#ASMEND
	;; [unrolled: 3-line block ×12, first 2 shown]
	s_waitcnt lgkmcnt(1)
	;;#ASMSTART
	v_dot2_f32_f16 v102, v113, v5, v102
	;;#ASMEND
	;;#ASMSTART
	v_dot2_f32_f16 v102, v114, v6, v102
	;;#ASMEND
	;; [unrolled: 3-line block ×16, first 2 shown]
	s_waitcnt lgkmcnt(0)
	;;#ASMSTART
	v_dot2_f32_f16 v103, v117, v5, v103
	;;#ASMEND
	;;#ASMSTART
	v_dot2_f32_f16 v103, v118, v6, v103
	;;#ASMEND
	;; [unrolled: 3-line block ×16, first 2 shown]
	ds_read_b128 v[1:4], v40 offset:64
	ds_read_b128 v[5:8], v104 offset:64
	;; [unrolled: 1-line block ×8, first 2 shown]
	s_waitcnt lgkmcnt(6)
	;;#ASMSTART
	v_dot2_f32_f16 v100, v1, v5, v100
	;;#ASMEND
	;;#ASMSTART
	v_dot2_f32_f16 v100, v2, v6, v100
	;;#ASMEND
	;;#ASMSTART
	v_dot2_f32_f16 v100, v3, v7, v100
	;;#ASMEND
	;;#ASMSTART
	v_dot2_f32_f16 v100, v4, v8, v100
	;;#ASMEND
	s_waitcnt lgkmcnt(5)
	;;#ASMSTART
	v_dot2_f32_f16 v98, v1, v9, v98
	;;#ASMEND
	;;#ASMSTART
	v_dot2_f32_f16 v98, v2, v10, v98
	;;#ASMEND
	;;#ASMSTART
	v_dot2_f32_f16 v98, v3, v11, v98
	;;#ASMEND
	;;#ASMSTART
	v_dot2_f32_f16 v98, v4, v12, v98
	;;#ASMEND
	;; [unrolled: 13-line block ×5, first 2 shown]
	;;#ASMSTART
	v_dot2_f32_f16 v99, v109, v9, v99
	;;#ASMEND
	;;#ASMSTART
	v_dot2_f32_f16 v99, v110, v10, v99
	;;#ASMEND
	;; [unrolled: 3-line block ×12, first 2 shown]
	s_waitcnt lgkmcnt(1)
	;;#ASMSTART
	v_dot2_f32_f16 v102, v113, v5, v102
	;;#ASMEND
	;;#ASMSTART
	v_dot2_f32_f16 v102, v114, v6, v102
	;;#ASMEND
	;; [unrolled: 3-line block ×16, first 2 shown]
	s_waitcnt lgkmcnt(0)
	;;#ASMSTART
	v_dot2_f32_f16 v103, v117, v5, v103
	;;#ASMEND
	;;#ASMSTART
	v_dot2_f32_f16 v103, v118, v6, v103
	;;#ASMEND
	;; [unrolled: 3-line block ×16, first 2 shown]
	ds_read_b128 v[13:16], v40 offset:80
	ds_read_b128 v[1:4], v104 offset:80
	ds_read_b128 v[5:8], v104 offset:1232
	ds_read_b128 v[9:12], v104 offset:2384
	ds_read_b128 v[105:108], v104 offset:3536
	ds_read_b128 v[109:112], v40 offset:4688
	ds_read_b128 v[113:116], v40 offset:9296
	ds_read_b128 v[117:120], v40 offset:13904
	s_waitcnt lgkmcnt(6)
	;;#ASMSTART
	v_dot2_f32_f16 v100, v13, v1, v100
	;;#ASMEND
	;;#ASMSTART
	v_dot2_f32_f16 v100, v14, v2, v100
	;;#ASMEND
	;;#ASMSTART
	v_dot2_f32_f16 v100, v15, v3, v100
	;;#ASMEND
	;;#ASMSTART
	v_dot2_f32_f16 v100, v16, v4, v100
	;;#ASMEND
	s_waitcnt lgkmcnt(5)
	;;#ASMSTART
	v_dot2_f32_f16 v98, v13, v5, v98
	;;#ASMEND
	;;#ASMSTART
	v_dot2_f32_f16 v98, v14, v6, v98
	;;#ASMEND
	;;#ASMSTART
	v_dot2_f32_f16 v98, v15, v7, v98
	;;#ASMEND
	;;#ASMSTART
	v_dot2_f32_f16 v98, v16, v8, v98
	;;#ASMEND
	;; [unrolled: 13-line block ×5, first 2 shown]
	;;#ASMSTART
	v_dot2_f32_f16 v99, v109, v5, v99
	;;#ASMEND
	;;#ASMSTART
	v_dot2_f32_f16 v99, v110, v6, v99
	;;#ASMEND
	;; [unrolled: 3-line block ×12, first 2 shown]
	s_waitcnt lgkmcnt(1)
	;;#ASMSTART
	v_dot2_f32_f16 v102, v113, v1, v102
	;;#ASMEND
	;;#ASMSTART
	v_dot2_f32_f16 v102, v114, v2, v102
	;;#ASMEND
	;; [unrolled: 3-line block ×16, first 2 shown]
	s_waitcnt lgkmcnt(0)
	;;#ASMSTART
	v_dot2_f32_f16 v103, v117, v1, v103
	;;#ASMEND
	;;#ASMSTART
	v_dot2_f32_f16 v103, v118, v2, v103
	;;#ASMEND
	;; [unrolled: 3-line block ×16, first 2 shown]
	ds_read_b128 v[1:4], v40 offset:96
	ds_read_b128 v[5:8], v104 offset:96
	ds_read_b128 v[9:12], v104 offset:1248
	ds_read_b128 v[13:16], v104 offset:2400
	ds_read_b128 v[105:108], v104 offset:3552
	ds_read_b128 v[109:112], v40 offset:4704
	ds_read_b128 v[113:116], v40 offset:9312
	ds_read_b128 v[117:120], v40 offset:13920
	s_waitcnt lgkmcnt(6)
	;;#ASMSTART
	v_dot2_f32_f16 v100, v1, v5, v100
	;;#ASMEND
	;;#ASMSTART
	v_dot2_f32_f16 v100, v2, v6, v100
	;;#ASMEND
	;;#ASMSTART
	v_dot2_f32_f16 v100, v3, v7, v100
	;;#ASMEND
	;;#ASMSTART
	v_dot2_f32_f16 v100, v4, v8, v100
	;;#ASMEND
	s_waitcnt lgkmcnt(5)
	;;#ASMSTART
	v_dot2_f32_f16 v98, v1, v9, v98
	;;#ASMEND
	;;#ASMSTART
	v_dot2_f32_f16 v98, v2, v10, v98
	;;#ASMEND
	;;#ASMSTART
	v_dot2_f32_f16 v98, v3, v11, v98
	;;#ASMEND
	;;#ASMSTART
	v_dot2_f32_f16 v98, v4, v12, v98
	;;#ASMEND
	;; [unrolled: 13-line block ×5, first 2 shown]
	;;#ASMSTART
	v_dot2_f32_f16 v99, v109, v9, v99
	;;#ASMEND
	;;#ASMSTART
	v_dot2_f32_f16 v99, v110, v10, v99
	;;#ASMEND
	;; [unrolled: 3-line block ×12, first 2 shown]
	s_waitcnt lgkmcnt(1)
	;;#ASMSTART
	v_dot2_f32_f16 v102, v113, v5, v102
	;;#ASMEND
	;;#ASMSTART
	v_dot2_f32_f16 v102, v114, v6, v102
	;;#ASMEND
	;; [unrolled: 3-line block ×16, first 2 shown]
	s_waitcnt lgkmcnt(0)
	;;#ASMSTART
	v_dot2_f32_f16 v103, v117, v5, v103
	;;#ASMEND
	;;#ASMSTART
	v_dot2_f32_f16 v103, v118, v6, v103
	;;#ASMEND
	;; [unrolled: 3-line block ×16, first 2 shown]
	ds_read_b128 v[1:4], v40 offset:112
	ds_read_b128 v[5:8], v104 offset:112
	;; [unrolled: 1-line block ×8, first 2 shown]
	s_waitcnt lgkmcnt(6)
	;;#ASMSTART
	v_dot2_f32_f16 v100, v1, v5, v100
	;;#ASMEND
	;;#ASMSTART
	v_dot2_f32_f16 v100, v2, v6, v100
	;;#ASMEND
	;;#ASMSTART
	v_dot2_f32_f16 v100, v3, v7, v100
	;;#ASMEND
	;;#ASMSTART
	v_dot2_f32_f16 v100, v4, v8, v100
	;;#ASMEND
	s_waitcnt lgkmcnt(5)
	;;#ASMSTART
	v_dot2_f32_f16 v98, v1, v9, v98
	;;#ASMEND
	;;#ASMSTART
	v_dot2_f32_f16 v98, v2, v10, v98
	;;#ASMEND
	;;#ASMSTART
	v_dot2_f32_f16 v98, v3, v11, v98
	;;#ASMEND
	;;#ASMSTART
	v_dot2_f32_f16 v98, v4, v12, v98
	;;#ASMEND
	;; [unrolled: 13-line block ×5, first 2 shown]
	;;#ASMSTART
	v_dot2_f32_f16 v99, v108, v9, v99
	;;#ASMEND
	;;#ASMSTART
	v_dot2_f32_f16 v99, v109, v10, v99
	;;#ASMEND
	;; [unrolled: 3-line block ×11, first 2 shown]
	s_lshr_b32 s0, s26, 1
	;;#ASMSTART
	v_dot2_f32_f16 v91, v111, v107, v91
	;;#ASMEND
	s_waitcnt lgkmcnt(1)
	;;#ASMSTART
	v_dot2_f32_f16 v102, v112, v5, v102
	;;#ASMEND
	;;#ASMSTART
	v_dot2_f32_f16 v102, v113, v6, v102
	;;#ASMEND
	s_lshl_b64 s[38:39], s[0:1], 2
	;;#ASMSTART
	v_dot2_f32_f16 v102, v114, v7, v102
	;;#ASMEND
	;;#ASMSTART
	v_dot2_f32_f16 v102, v115, v8, v102
	;;#ASMEND
	;; [unrolled: 3-line block ×3, first 2 shown]
	s_add_u32 s0, s19, s38
	;;#ASMSTART
	v_dot2_f32_f16 v96, v113, v10, v96
	;;#ASMEND
	;;#ASMSTART
	v_dot2_f32_f16 v96, v114, v11, v96
	;;#ASMEND
	s_addc_u32 s27, s24, s39
	v_add_co_u32 v121, vcc_lo, s0, v19
	;;#ASMSTART
	v_dot2_f32_f16 v96, v115, v12, v96
	;;#ASMEND
	;;#ASMSTART
	v_dot2_f32_f16 v95, v112, v13, v95
	;;#ASMEND
	;; [unrolled: 3-line block ×3, first 2 shown]
	v_add_co_ci_u32_e64 v122, null, s27, v20, vcc_lo
	v_add_co_u32 v123, vcc_lo, s0, v21
	;;#ASMSTART
	v_dot2_f32_f16 v95, v114, v15, v95
	;;#ASMEND
	;;#ASMSTART
	v_dot2_f32_f16 v95, v115, v16, v95
	;;#ASMEND
	;; [unrolled: 3-line block ×3, first 2 shown]
	v_add_co_ci_u32_e64 v124, null, s27, v22, vcc_lo
	v_add_co_u32 v125, vcc_lo, s0, v23
	;;#ASMSTART
	v_dot2_f32_f16 v89, v113, v105, v89
	;;#ASMEND
	;;#ASMSTART
	v_dot2_f32_f16 v89, v114, v106, v89
	;;#ASMEND
	v_add_co_ci_u32_e64 v126, null, s27, v24, vcc_lo
	v_add_co_u32 v127, vcc_lo, s0, v25
	;;#ASMSTART
	v_dot2_f32_f16 v89, v115, v107, v89
	;;#ASMEND
	s_waitcnt lgkmcnt(0)
	;;#ASMSTART
	v_dot2_f32_f16 v103, v116, v5, v103
	;;#ASMEND
	;;#ASMSTART
	v_dot2_f32_f16 v103, v117, v6, v103
	;;#ASMEND
	v_add_co_ci_u32_e64 v128, null, s27, v26, vcc_lo
	v_add_co_u32 v120, vcc_lo, v121, v46
	;;#ASMSTART
	v_dot2_f32_f16 v103, v118, v7, v103
	;;#ASMEND
	;;#ASMSTART
	v_dot2_f32_f16 v103, v119, v8, v103
	;;#ASMEND
	;; [unrolled: 3-line block ×3, first 2 shown]
	v_add_co_ci_u32_e64 v121, null, 0, v122, vcc_lo
	v_add_co_u32 v122, vcc_lo, v123, v46
	;;#ASMSTART
	v_dot2_f32_f16 v97, v117, v10, v97
	;;#ASMEND
	;;#ASMSTART
	v_dot2_f32_f16 v97, v118, v11, v97
	;;#ASMEND
	v_add_co_ci_u32_e64 v123, null, 0, v124, vcc_lo
	v_add_co_u32 v124, vcc_lo, v125, v46
	;;#ASMSTART
	v_dot2_f32_f16 v97, v119, v12, v97
	;;#ASMEND
	;;#ASMSTART
	v_dot2_f32_f16 v93, v116, v13, v93
	;;#ASMEND
	;;#ASMSTART
	v_dot2_f32_f16 v93, v117, v14, v93
	;;#ASMEND
	v_add_co_ci_u32_e64 v125, null, 0, v126, vcc_lo
	v_add_co_u32 v126, vcc_lo, v127, v46
	;;#ASMSTART
	v_dot2_f32_f16 v93, v118, v15, v93
	;;#ASMEND
	;;#ASMSTART
	v_dot2_f32_f16 v93, v119, v16, v93
	;;#ASMEND
	;; [unrolled: 3-line block ×3, first 2 shown]
	v_add_co_ci_u32_e64 v127, null, 0, v128, vcc_lo
	;;#ASMSTART
	v_dot2_f32_f16 v80, v117, v105, v80
	;;#ASMEND
	;;#ASMSTART
	v_dot2_f32_f16 v80, v118, v106, v80
	;;#ASMEND
	;; [unrolled: 3-line block ×3, first 2 shown]
	s_barrier
	buffer_gl0_inv
	s_clause 0x3
	global_load_dwordx4 v[2:5], v[120:121], off
	global_load_dwordx4 v[6:9], v[122:123], off
	;; [unrolled: 1-line block ×4, first 2 shown]
	v_lshl_add_u32 v1, s26, 1, v33
	s_waitcnt vmcnt(3)
	ds_write_b128 v36, v[2:5]
	s_waitcnt vmcnt(2)
	ds_write_b128 v37, v[6:9]
	;; [unrolled: 2-line block ×4, first 2 shown]
	s_waitcnt lgkmcnt(0)
	s_barrier
	buffer_gl0_inv
	ds_read_b128 v[2:5], v40
	ds_read_b128 v[6:9], v1
	ds_read_b128 v[10:13], v1 offset:1152
	ds_read_b128 v[104:107], v1 offset:2304
	;; [unrolled: 1-line block ×6, first 2 shown]
	s_waitcnt lgkmcnt(6)
	;;#ASMSTART
	v_dot2_f32_f16 v100, v2, v6, v100
	;;#ASMEND
	;;#ASMSTART
	v_dot2_f32_f16 v100, v3, v7, v100
	;;#ASMEND
	;;#ASMSTART
	v_dot2_f32_f16 v100, v4, v8, v100
	;;#ASMEND
	;;#ASMSTART
	v_dot2_f32_f16 v100, v5, v9, v100
	;;#ASMEND
	s_waitcnt lgkmcnt(5)
	;;#ASMSTART
	v_dot2_f32_f16 v98, v2, v10, v98
	;;#ASMEND
	;;#ASMSTART
	v_dot2_f32_f16 v98, v3, v11, v98
	;;#ASMEND
	;;#ASMSTART
	v_dot2_f32_f16 v98, v4, v12, v98
	;;#ASMEND
	;;#ASMSTART
	v_dot2_f32_f16 v98, v5, v13, v98
	;;#ASMEND
	;; [unrolled: 13-line block ×5, first 2 shown]
	;;#ASMSTART
	v_dot2_f32_f16 v99, v112, v10, v99
	;;#ASMEND
	;;#ASMSTART
	v_dot2_f32_f16 v99, v113, v11, v99
	;;#ASMEND
	;; [unrolled: 3-line block ×12, first 2 shown]
	s_waitcnt lgkmcnt(1)
	;;#ASMSTART
	v_dot2_f32_f16 v102, v116, v6, v102
	;;#ASMEND
	;;#ASMSTART
	v_dot2_f32_f16 v102, v117, v7, v102
	;;#ASMEND
	;; [unrolled: 3-line block ×16, first 2 shown]
	s_waitcnt lgkmcnt(0)
	;;#ASMSTART
	v_dot2_f32_f16 v103, v120, v6, v103
	;;#ASMEND
	;;#ASMSTART
	v_dot2_f32_f16 v103, v121, v7, v103
	;;#ASMEND
	;; [unrolled: 3-line block ×16, first 2 shown]
	ds_read_b128 v[2:5], v40 offset:16
	ds_read_b128 v[6:9], v1 offset:16
	ds_read_b128 v[10:13], v1 offset:1168
	ds_read_b128 v[104:107], v1 offset:2320
	ds_read_b128 v[108:111], v1 offset:3472
	ds_read_b128 v[112:115], v40 offset:4624
	ds_read_b128 v[116:119], v40 offset:9232
	ds_read_b128 v[120:123], v40 offset:13840
	s_waitcnt lgkmcnt(6)
	;;#ASMSTART
	v_dot2_f32_f16 v100, v2, v6, v100
	;;#ASMEND
	;;#ASMSTART
	v_dot2_f32_f16 v100, v3, v7, v100
	;;#ASMEND
	;;#ASMSTART
	v_dot2_f32_f16 v100, v4, v8, v100
	;;#ASMEND
	;;#ASMSTART
	v_dot2_f32_f16 v100, v5, v9, v100
	;;#ASMEND
	s_waitcnt lgkmcnt(5)
	;;#ASMSTART
	v_dot2_f32_f16 v98, v2, v10, v98
	;;#ASMEND
	;;#ASMSTART
	v_dot2_f32_f16 v98, v3, v11, v98
	;;#ASMEND
	;;#ASMSTART
	v_dot2_f32_f16 v98, v4, v12, v98
	;;#ASMEND
	;;#ASMSTART
	v_dot2_f32_f16 v98, v5, v13, v98
	;;#ASMEND
	;; [unrolled: 13-line block ×5, first 2 shown]
	;;#ASMSTART
	v_dot2_f32_f16 v99, v112, v10, v99
	;;#ASMEND
	;;#ASMSTART
	v_dot2_f32_f16 v99, v113, v11, v99
	;;#ASMEND
	;; [unrolled: 3-line block ×12, first 2 shown]
	s_waitcnt lgkmcnt(1)
	;;#ASMSTART
	v_dot2_f32_f16 v102, v116, v6, v102
	;;#ASMEND
	;;#ASMSTART
	v_dot2_f32_f16 v102, v117, v7, v102
	;;#ASMEND
	;; [unrolled: 3-line block ×16, first 2 shown]
	s_waitcnt lgkmcnt(0)
	;;#ASMSTART
	v_dot2_f32_f16 v103, v120, v6, v103
	;;#ASMEND
	;;#ASMSTART
	v_dot2_f32_f16 v103, v121, v7, v103
	;;#ASMEND
	;; [unrolled: 3-line block ×16, first 2 shown]
	ds_read_b128 v[2:5], v40 offset:32
	ds_read_b128 v[6:9], v1 offset:32
	;; [unrolled: 1-line block ×8, first 2 shown]
	s_waitcnt lgkmcnt(6)
	;;#ASMSTART
	v_dot2_f32_f16 v100, v2, v6, v100
	;;#ASMEND
	;;#ASMSTART
	v_dot2_f32_f16 v100, v3, v7, v100
	;;#ASMEND
	;;#ASMSTART
	v_dot2_f32_f16 v100, v4, v8, v100
	;;#ASMEND
	;;#ASMSTART
	v_dot2_f32_f16 v100, v5, v9, v100
	;;#ASMEND
	s_waitcnt lgkmcnt(5)
	;;#ASMSTART
	v_dot2_f32_f16 v98, v2, v10, v98
	;;#ASMEND
	;;#ASMSTART
	v_dot2_f32_f16 v98, v3, v11, v98
	;;#ASMEND
	;;#ASMSTART
	v_dot2_f32_f16 v98, v4, v12, v98
	;;#ASMEND
	;;#ASMSTART
	v_dot2_f32_f16 v98, v5, v13, v98
	;;#ASMEND
	;; [unrolled: 13-line block ×5, first 2 shown]
	;;#ASMSTART
	v_dot2_f32_f16 v99, v112, v10, v99
	;;#ASMEND
	;;#ASMSTART
	v_dot2_f32_f16 v99, v113, v11, v99
	;;#ASMEND
	;; [unrolled: 3-line block ×12, first 2 shown]
	s_waitcnt lgkmcnt(1)
	;;#ASMSTART
	v_dot2_f32_f16 v102, v116, v6, v102
	;;#ASMEND
	;;#ASMSTART
	v_dot2_f32_f16 v102, v117, v7, v102
	;;#ASMEND
	;; [unrolled: 3-line block ×16, first 2 shown]
	s_waitcnt lgkmcnt(0)
	;;#ASMSTART
	v_dot2_f32_f16 v103, v120, v6, v103
	;;#ASMEND
	;;#ASMSTART
	v_dot2_f32_f16 v103, v121, v7, v103
	;;#ASMEND
	;; [unrolled: 3-line block ×16, first 2 shown]
	ds_read_b128 v[2:5], v40 offset:48
	ds_read_b128 v[6:9], v1 offset:48
	;; [unrolled: 1-line block ×8, first 2 shown]
	s_waitcnt lgkmcnt(6)
	;;#ASMSTART
	v_dot2_f32_f16 v100, v2, v6, v100
	;;#ASMEND
	;;#ASMSTART
	v_dot2_f32_f16 v100, v3, v7, v100
	;;#ASMEND
	;;#ASMSTART
	v_dot2_f32_f16 v100, v4, v8, v100
	;;#ASMEND
	;;#ASMSTART
	v_dot2_f32_f16 v100, v5, v9, v100
	;;#ASMEND
	s_waitcnt lgkmcnt(5)
	;;#ASMSTART
	v_dot2_f32_f16 v98, v2, v10, v98
	;;#ASMEND
	;;#ASMSTART
	v_dot2_f32_f16 v98, v3, v11, v98
	;;#ASMEND
	;;#ASMSTART
	v_dot2_f32_f16 v98, v4, v12, v98
	;;#ASMEND
	;;#ASMSTART
	v_dot2_f32_f16 v98, v5, v13, v98
	;;#ASMEND
	;; [unrolled: 13-line block ×5, first 2 shown]
	;;#ASMSTART
	v_dot2_f32_f16 v99, v112, v10, v99
	;;#ASMEND
	;;#ASMSTART
	v_dot2_f32_f16 v99, v113, v11, v99
	;;#ASMEND
	;; [unrolled: 3-line block ×12, first 2 shown]
	s_waitcnt lgkmcnt(1)
	;;#ASMSTART
	v_dot2_f32_f16 v102, v116, v6, v102
	;;#ASMEND
	;;#ASMSTART
	v_dot2_f32_f16 v102, v117, v7, v102
	;;#ASMEND
	;; [unrolled: 3-line block ×16, first 2 shown]
	s_waitcnt lgkmcnt(0)
	;;#ASMSTART
	v_dot2_f32_f16 v103, v120, v6, v103
	;;#ASMEND
	;;#ASMSTART
	v_dot2_f32_f16 v103, v121, v7, v103
	;;#ASMEND
	;; [unrolled: 3-line block ×16, first 2 shown]
	ds_read_b128 v[2:5], v40 offset:64
	ds_read_b128 v[6:9], v1 offset:64
	;; [unrolled: 1-line block ×8, first 2 shown]
	s_waitcnt lgkmcnt(6)
	;;#ASMSTART
	v_dot2_f32_f16 v100, v2, v6, v100
	;;#ASMEND
	;;#ASMSTART
	v_dot2_f32_f16 v100, v3, v7, v100
	;;#ASMEND
	;;#ASMSTART
	v_dot2_f32_f16 v100, v4, v8, v100
	;;#ASMEND
	;;#ASMSTART
	v_dot2_f32_f16 v100, v5, v9, v100
	;;#ASMEND
	s_waitcnt lgkmcnt(5)
	;;#ASMSTART
	v_dot2_f32_f16 v98, v2, v10, v98
	;;#ASMEND
	;;#ASMSTART
	v_dot2_f32_f16 v98, v3, v11, v98
	;;#ASMEND
	;;#ASMSTART
	v_dot2_f32_f16 v98, v4, v12, v98
	;;#ASMEND
	;;#ASMSTART
	v_dot2_f32_f16 v98, v5, v13, v98
	;;#ASMEND
	;; [unrolled: 13-line block ×5, first 2 shown]
	;;#ASMSTART
	v_dot2_f32_f16 v99, v112, v10, v99
	;;#ASMEND
	;;#ASMSTART
	v_dot2_f32_f16 v99, v113, v11, v99
	;;#ASMEND
	;; [unrolled: 3-line block ×12, first 2 shown]
	s_waitcnt lgkmcnt(1)
	;;#ASMSTART
	v_dot2_f32_f16 v102, v116, v6, v102
	;;#ASMEND
	;;#ASMSTART
	v_dot2_f32_f16 v102, v117, v7, v102
	;;#ASMEND
	;; [unrolled: 3-line block ×16, first 2 shown]
	s_waitcnt lgkmcnt(0)
	;;#ASMSTART
	v_dot2_f32_f16 v103, v120, v6, v103
	;;#ASMEND
	;;#ASMSTART
	v_dot2_f32_f16 v103, v121, v7, v103
	;;#ASMEND
	;; [unrolled: 3-line block ×16, first 2 shown]
	ds_read_b128 v[2:5], v40 offset:80
	ds_read_b128 v[6:9], v1 offset:80
	ds_read_b128 v[10:13], v1 offset:1232
	ds_read_b128 v[104:107], v1 offset:2384
	ds_read_b128 v[108:111], v1 offset:3536
	ds_read_b128 v[112:115], v40 offset:4688
	ds_read_b128 v[116:119], v40 offset:9296
	ds_read_b128 v[120:123], v40 offset:13904
	s_waitcnt lgkmcnt(6)
	;;#ASMSTART
	v_dot2_f32_f16 v100, v2, v6, v100
	;;#ASMEND
	;;#ASMSTART
	v_dot2_f32_f16 v100, v3, v7, v100
	;;#ASMEND
	;;#ASMSTART
	v_dot2_f32_f16 v100, v4, v8, v100
	;;#ASMEND
	;;#ASMSTART
	v_dot2_f32_f16 v100, v5, v9, v100
	;;#ASMEND
	s_waitcnt lgkmcnt(5)
	;;#ASMSTART
	v_dot2_f32_f16 v98, v2, v10, v98
	;;#ASMEND
	;;#ASMSTART
	v_dot2_f32_f16 v98, v3, v11, v98
	;;#ASMEND
	;;#ASMSTART
	v_dot2_f32_f16 v98, v4, v12, v98
	;;#ASMEND
	;;#ASMSTART
	v_dot2_f32_f16 v98, v5, v13, v98
	;;#ASMEND
	;; [unrolled: 13-line block ×5, first 2 shown]
	;;#ASMSTART
	v_dot2_f32_f16 v99, v112, v10, v99
	;;#ASMEND
	;;#ASMSTART
	v_dot2_f32_f16 v99, v113, v11, v99
	;;#ASMEND
	;; [unrolled: 3-line block ×12, first 2 shown]
	s_waitcnt lgkmcnt(1)
	;;#ASMSTART
	v_dot2_f32_f16 v102, v116, v6, v102
	;;#ASMEND
	;;#ASMSTART
	v_dot2_f32_f16 v102, v117, v7, v102
	;;#ASMEND
	;; [unrolled: 3-line block ×16, first 2 shown]
	s_waitcnt lgkmcnt(0)
	;;#ASMSTART
	v_dot2_f32_f16 v103, v120, v6, v103
	;;#ASMEND
	;;#ASMSTART
	v_dot2_f32_f16 v103, v121, v7, v103
	;;#ASMEND
	;; [unrolled: 3-line block ×16, first 2 shown]
	ds_read_b128 v[2:5], v40 offset:96
	ds_read_b128 v[6:9], v1 offset:96
	;; [unrolled: 1-line block ×8, first 2 shown]
	s_waitcnt lgkmcnt(6)
	;;#ASMSTART
	v_dot2_f32_f16 v100, v2, v6, v100
	;;#ASMEND
	;;#ASMSTART
	v_dot2_f32_f16 v100, v3, v7, v100
	;;#ASMEND
	;;#ASMSTART
	v_dot2_f32_f16 v100, v4, v8, v100
	;;#ASMEND
	;;#ASMSTART
	v_dot2_f32_f16 v100, v5, v9, v100
	;;#ASMEND
	s_waitcnt lgkmcnt(5)
	;;#ASMSTART
	v_dot2_f32_f16 v98, v2, v10, v98
	;;#ASMEND
	;;#ASMSTART
	v_dot2_f32_f16 v98, v3, v11, v98
	;;#ASMEND
	;;#ASMSTART
	v_dot2_f32_f16 v98, v4, v12, v98
	;;#ASMEND
	;;#ASMSTART
	v_dot2_f32_f16 v98, v5, v13, v98
	;;#ASMEND
	;; [unrolled: 13-line block ×5, first 2 shown]
	;;#ASMSTART
	v_dot2_f32_f16 v99, v112, v10, v99
	;;#ASMEND
	;;#ASMSTART
	v_dot2_f32_f16 v99, v113, v11, v99
	;;#ASMEND
	;; [unrolled: 3-line block ×12, first 2 shown]
	s_waitcnt lgkmcnt(1)
	;;#ASMSTART
	v_dot2_f32_f16 v102, v116, v6, v102
	;;#ASMEND
	;;#ASMSTART
	v_dot2_f32_f16 v102, v117, v7, v102
	;;#ASMEND
	;; [unrolled: 3-line block ×16, first 2 shown]
	s_waitcnt lgkmcnt(0)
	;;#ASMSTART
	v_dot2_f32_f16 v103, v120, v6, v103
	;;#ASMEND
	;;#ASMSTART
	v_dot2_f32_f16 v103, v121, v7, v103
	;;#ASMEND
	;; [unrolled: 3-line block ×16, first 2 shown]
	ds_read_b128 v[2:5], v40 offset:112
	ds_read_b128 v[6:9], v1 offset:112
	;; [unrolled: 1-line block ×8, first 2 shown]
	s_waitcnt lgkmcnt(6)
	;;#ASMSTART
	v_dot2_f32_f16 v100, v2, v6, v100
	;;#ASMEND
	;;#ASMSTART
	v_dot2_f32_f16 v100, v3, v7, v100
	;;#ASMEND
	;;#ASMSTART
	v_dot2_f32_f16 v100, v4, v8, v100
	;;#ASMEND
	;;#ASMSTART
	v_dot2_f32_f16 v100, v5, v9, v100
	;;#ASMEND
	s_waitcnt lgkmcnt(5)
	;;#ASMSTART
	v_dot2_f32_f16 v98, v2, v10, v98
	;;#ASMEND
	;;#ASMSTART
	v_dot2_f32_f16 v98, v3, v11, v98
	;;#ASMEND
	;;#ASMSTART
	v_dot2_f32_f16 v98, v4, v12, v98
	;;#ASMEND
	;;#ASMSTART
	v_dot2_f32_f16 v98, v5, v13, v98
	;;#ASMEND
	;; [unrolled: 13-line block ×5, first 2 shown]
	;;#ASMSTART
	v_dot2_f32_f16 v99, v112, v10, v99
	;;#ASMEND
	;;#ASMSTART
	v_dot2_f32_f16 v99, v113, v11, v99
	;;#ASMEND
	;; [unrolled: 3-line block ×12, first 2 shown]
	s_waitcnt lgkmcnt(1)
	;;#ASMSTART
	v_dot2_f32_f16 v102, v116, v6, v102
	;;#ASMEND
	;;#ASMSTART
	v_dot2_f32_f16 v102, v117, v7, v102
	;;#ASMEND
	;; [unrolled: 3-line block ×16, first 2 shown]
	s_waitcnt lgkmcnt(0)
	;;#ASMSTART
	v_dot2_f32_f16 v103, v120, v6, v103
	;;#ASMEND
	;;#ASMSTART
	v_dot2_f32_f16 v103, v121, v7, v103
	;;#ASMEND
	;; [unrolled: 3-line block ×13, first 2 shown]
	s_cmpk_gt_u32 s25, 0x17f
	;;#ASMSTART
	v_dot2_f32_f16 v80, v121, v109, v80
	;;#ASMEND
	s_mov_b32 s0, -1
	;;#ASMSTART
	v_dot2_f32_f16 v80, v122, v110, v80
	;;#ASMEND
	;;#ASMSTART
	v_dot2_f32_f16 v80, v123, v111, v80
	;;#ASMEND
	s_cbranch_scc1 .LBB25_18
; %bb.20:                               ;   in Loop: Header=BB25_19 Depth=2
	s_barrier
	s_addk_i32 s25, 0xc0
	s_mov_b32 s0, 0
	buffer_gl0_inv
	s_branch .LBB25_18
.LBB25_21:                              ;   in Loop: Header=BB25_17 Depth=1
	v_cmp_ngt_f32_e64 s0, 0x3f200000, |v100|
                                        ; implicit-def: $vgpr3
	s_and_saveexec_b32 s19, s0
	s_xor_b32 s0, exec_lo, s19
	s_cbranch_execz .LBB25_23
; %bb.22:                               ;   in Loop: Header=BB25_17 Depth=1
	v_add_f32_e64 v1, |v100|, |v100|
	v_mul_f32_e32 v2, 0x3fb8aa3b, v1
	v_cmp_ngt_f32_e32 vcc_lo, 0xc2ce8ed0, v1
	v_rndne_f32_e32 v3, v2
	v_fma_f32 v4, 0x3fb8aa3b, v1, -v2
	v_sub_f32_e32 v2, v2, v3
	v_fmac_f32_e32 v4, 0x32a5705f, v1
	v_cvt_i32_f32_e32 v3, v3
	v_add_f32_e32 v2, v2, v4
	v_exp_f32_e32 v2, v2
	v_ldexp_f32 v2, v2, v3
	v_cndmask_b32_e32 v2, 0, v2, vcc_lo
	v_cmp_nlt_f32_e32 vcc_lo, 0x42b17218, v1
	v_cndmask_b32_e32 v1, 0x7f800000, v2, vcc_lo
	v_add_f32_e32 v1, 1.0, v1
	v_rcp_f32_e32 v1, v1
	v_fma_f32 v3, v1, -2.0, 1.0
.LBB25_23:                              ;   in Loop: Header=BB25_17 Depth=1
	s_andn2_saveexec_b32 s0, s0
	s_cbranch_execz .LBB25_25
; %bb.24:                               ;   in Loop: Header=BB25_17 Depth=1
	v_mul_f32_e32 v1, v100, v100
	v_fmaak_f32 v2, s18, v1, 0x3ca908c9
	v_fmaak_f32 v2, v1, v2, 0xbd5c1c4e
	;; [unrolled: 1-line block ×4, first 2 shown]
	v_mul_f32_e64 v2, |v100|, v2
	v_fma_f32 v3, v1, v2, |v100|
.LBB25_25:                              ;   in Loop: Header=BB25_17 Depth=1
	s_or_b32 exec_lo, exec_lo, s0
	v_add_nc_u32_e32 v1, s8, v18
	v_cmp_ngt_f32_e64 s0, 0x3f200000, |v101|
                                        ; implicit-def: $vgpr4
	v_ashrrev_i32_e32 v2, 31, v1
	v_lshlrev_b64 v[1:2], 1, v[1:2]
	v_add_co_u32 v1, vcc_lo, s36, v1
	v_add_co_ci_u32_e64 v2, null, s37, v2, vcc_lo
	global_load_ushort v5, v[1:2], off
	s_and_saveexec_b32 s19, s0
	s_xor_b32 s0, exec_lo, s19
	s_cbranch_execz .LBB25_27
; %bb.26:                               ;   in Loop: Header=BB25_17 Depth=1
	v_add_f32_e64 v4, |v101|, |v101|
	v_mul_f32_e32 v6, 0x3fb8aa3b, v4
	v_cmp_ngt_f32_e32 vcc_lo, 0xc2ce8ed0, v4
	v_rndne_f32_e32 v7, v6
	v_fma_f32 v8, 0x3fb8aa3b, v4, -v6
	v_sub_f32_e32 v6, v6, v7
	v_fmac_f32_e32 v8, 0x32a5705f, v4
	v_cvt_i32_f32_e32 v7, v7
	v_add_f32_e32 v6, v6, v8
	v_exp_f32_e32 v6, v6
	v_ldexp_f32 v6, v6, v7
	v_cndmask_b32_e32 v6, 0, v6, vcc_lo
	v_cmp_nlt_f32_e32 vcc_lo, 0x42b17218, v4
	v_cndmask_b32_e32 v4, 0x7f800000, v6, vcc_lo
	v_add_f32_e32 v4, 1.0, v4
	v_rcp_f32_e32 v4, v4
	v_fma_f32 v4, v4, -2.0, 1.0
.LBB25_27:                              ;   in Loop: Header=BB25_17 Depth=1
	s_andn2_saveexec_b32 s0, s0
	s_cbranch_execz .LBB25_29
; %bb.28:                               ;   in Loop: Header=BB25_17 Depth=1
	v_mul_f32_e32 v4, v101, v101
	v_fmaak_f32 v6, s18, v4, 0x3ca908c9
	v_fmaak_f32 v6, v4, v6, 0xbd5c1c4e
	;; [unrolled: 1-line block ×4, first 2 shown]
	v_mul_f32_e64 v6, |v101|, v6
	v_fma_f32 v4, v4, v6, |v101|
.LBB25_29:                              ;   in Loop: Header=BB25_17 Depth=1
	s_or_b32 exec_lo, exec_lo, s0
	global_load_ushort v6, v[1:2], off offset:64
	v_cmp_ngt_f32_e64 s0, 0x3f200000, |v102|
                                        ; implicit-def: $vgpr7
	s_and_saveexec_b32 s19, s0
	s_xor_b32 s0, exec_lo, s19
	s_cbranch_execz .LBB25_31
; %bb.30:                               ;   in Loop: Header=BB25_17 Depth=1
	v_add_f32_e64 v7, |v102|, |v102|
	v_mul_f32_e32 v8, 0x3fb8aa3b, v7
	v_cmp_ngt_f32_e32 vcc_lo, 0xc2ce8ed0, v7
	v_rndne_f32_e32 v9, v8
	v_fma_f32 v10, 0x3fb8aa3b, v7, -v8
	v_sub_f32_e32 v8, v8, v9
	v_fmac_f32_e32 v10, 0x32a5705f, v7
	v_cvt_i32_f32_e32 v9, v9
	v_add_f32_e32 v8, v8, v10
	v_exp_f32_e32 v8, v8
	v_ldexp_f32 v8, v8, v9
	v_cndmask_b32_e32 v8, 0, v8, vcc_lo
	v_cmp_nlt_f32_e32 vcc_lo, 0x42b17218, v7
	v_cndmask_b32_e32 v7, 0x7f800000, v8, vcc_lo
	v_add_f32_e32 v7, 1.0, v7
	v_rcp_f32_e32 v7, v7
	v_fma_f32 v7, v7, -2.0, 1.0
.LBB25_31:                              ;   in Loop: Header=BB25_17 Depth=1
	s_andn2_saveexec_b32 s0, s0
	s_cbranch_execz .LBB25_33
; %bb.32:                               ;   in Loop: Header=BB25_17 Depth=1
	v_mul_f32_e32 v7, v102, v102
	v_fmaak_f32 v8, s18, v7, 0x3ca908c9
	v_fmaak_f32 v8, v7, v8, 0xbd5c1c4e
	v_fmaak_f32 v8, v7, v8, 0x3e088382
	v_fmaak_f32 v8, v7, v8, 0xbeaaaa99
	v_mul_f32_e64 v8, |v102|, v8
	v_fma_f32 v7, v7, v8, |v102|
.LBB25_33:                              ;   in Loop: Header=BB25_17 Depth=1
	s_or_b32 exec_lo, exec_lo, s0
	global_load_ushort v104, v[1:2], off offset:128
	v_cmp_ngt_f32_e64 s0, 0x3f200000, |v103|
                                        ; implicit-def: $vgpr8
	s_and_saveexec_b32 s19, s0
	s_xor_b32 s0, exec_lo, s19
	s_cbranch_execz .LBB25_35
; %bb.34:                               ;   in Loop: Header=BB25_17 Depth=1
	v_add_f32_e64 v8, |v103|, |v103|
	v_mul_f32_e32 v9, 0x3fb8aa3b, v8
	v_cmp_ngt_f32_e32 vcc_lo, 0xc2ce8ed0, v8
	v_rndne_f32_e32 v10, v9
	v_fma_f32 v11, 0x3fb8aa3b, v8, -v9
	v_sub_f32_e32 v9, v9, v10
	v_fmac_f32_e32 v11, 0x32a5705f, v8
	v_cvt_i32_f32_e32 v10, v10
	v_add_f32_e32 v9, v9, v11
	v_exp_f32_e32 v9, v9
	v_ldexp_f32 v9, v9, v10
	v_cndmask_b32_e32 v9, 0, v9, vcc_lo
	v_cmp_nlt_f32_e32 vcc_lo, 0x42b17218, v8
	v_cndmask_b32_e32 v8, 0x7f800000, v9, vcc_lo
	v_add_f32_e32 v8, 1.0, v8
	v_rcp_f32_e32 v8, v8
	v_fma_f32 v8, v8, -2.0, 1.0
.LBB25_35:                              ;   in Loop: Header=BB25_17 Depth=1
	s_andn2_saveexec_b32 s0, s0
	s_cbranch_execz .LBB25_37
; %bb.36:                               ;   in Loop: Header=BB25_17 Depth=1
	v_mul_f32_e32 v8, v103, v103
	v_fmaak_f32 v9, s18, v8, 0x3ca908c9
	v_fmaak_f32 v9, v8, v9, 0xbd5c1c4e
	;; [unrolled: 1-line block ×4, first 2 shown]
	v_mul_f32_e64 v9, |v103|, v9
	v_fma_f32 v8, v8, v9, |v103|
.LBB25_37:                              ;   in Loop: Header=BB25_17 Depth=1
	s_or_b32 exec_lo, exec_lo, s0
	global_load_ushort v105, v[1:2], off offset:192
	v_bfi_b32 v1, 0x7fffffff, v3, v100
	v_bfi_b32 v2, 0x7fffffff, v4, v101
	;; [unrolled: 1-line block ×3, first 2 shown]
	v_xor_b32_e32 v13, 16, v35
	v_xor_b32_e32 v12, 8, v35
	s_waitcnt vmcnt(3)
	v_fma_mix_f32 v15, s15, v1, v5 op_sel_hi:[0,0,1]
	s_waitcnt vmcnt(2)
	v_fma_mix_f32 v100, s15, v2, v6 op_sel_hi:[0,0,1]
	v_bfi_b32 v1, 0x7fffffff, v7, v102
	v_cmp_gt_i32_e32 vcc_lo, 32, v13
	v_xor_b32_e32 v11, 4, v35
	v_add_f32_e32 v2, 0x40051340, v15
	v_add_f32_e32 v4, 0x40051340, v100
	s_waitcnt vmcnt(1)
	v_fma_mix_f32 v101, s15, v1, v104 op_sel_hi:[0,0,1]
	v_cndmask_b32_e32 v1, v35, v13, vcc_lo
	v_cmp_gt_i32_e32 vcc_lo, 32, v12
	v_xor_b32_e32 v10, 2, v35
	v_max3_f32 v2, v88, v2, v4
	v_xor_b32_e32 v9, 1, v35
	v_lshlrev_b32_e32 v1, 2, v1
	v_cmp_ngt_f32_e64 s0, 0x3f200000, |v98|
                                        ; implicit-def: $vgpr8
	s_waitcnt vmcnt(0)
	v_fma_mix_f32 v102, s15, v3, v105 op_sel_hi:[0,0,1]
	v_add_f32_e32 v3, 0x40051340, v101
	v_add_f32_e32 v4, 0x40051340, v102
	v_max3_f32 v2, v2, v3, v4
	v_cndmask_b32_e32 v4, v35, v12, vcc_lo
	v_cmp_gt_i32_e32 vcc_lo, 32, v11
	ds_bpermute_b32 v3, v1, v2
	v_lshlrev_b32_e32 v103, 2, v4
	v_cndmask_b32_e32 v4, v35, v11, vcc_lo
	v_cmp_gt_i32_e32 vcc_lo, 32, v10
	v_lshlrev_b32_e32 v14, 2, v4
	v_cndmask_b32_e32 v4, v35, v10, vcc_lo
	v_cmp_gt_i32_e32 vcc_lo, 32, v9
	v_lshlrev_b32_e32 v7, 2, v4
	v_cndmask_b32_e32 v4, v35, v9, vcc_lo
	v_lshlrev_b32_e32 v4, 2, v4
	s_waitcnt lgkmcnt(0)
	v_max_f32_e32 v3, v3, v3
	v_max_f32_e32 v2, v2, v3
	ds_bpermute_b32 v3, v103, v2
	s_waitcnt lgkmcnt(0)
	v_max_f32_e32 v3, v3, v3
	v_max_f32_e32 v2, v2, v3
	ds_bpermute_b32 v3, v14, v2
	;; [unrolled: 4-line block ×4, first 2 shown]
	s_and_saveexec_b32 s19, s0
	s_xor_b32 s0, exec_lo, s19
	s_cbranch_execz .LBB25_39
; %bb.38:                               ;   in Loop: Header=BB25_17 Depth=1
	v_add_f32_e64 v8, |v98|, |v98|
	v_mul_f32_e32 v16, 0x3fb8aa3b, v8
	v_cmp_ngt_f32_e32 vcc_lo, 0xc2ce8ed0, v8
	v_rndne_f32_e32 v106, v16
	v_fma_f32 v107, 0x3fb8aa3b, v8, -v16
	v_sub_f32_e32 v16, v16, v106
	v_fmac_f32_e32 v107, 0x32a5705f, v8
	v_cvt_i32_f32_e32 v106, v106
	v_add_f32_e32 v16, v16, v107
	v_exp_f32_e32 v16, v16
	v_ldexp_f32 v16, v16, v106
	v_cndmask_b32_e32 v16, 0, v16, vcc_lo
	v_cmp_nlt_f32_e32 vcc_lo, 0x42b17218, v8
	v_cndmask_b32_e32 v8, 0x7f800000, v16, vcc_lo
	v_add_f32_e32 v8, 1.0, v8
	v_rcp_f32_e32 v8, v8
	v_fma_f32 v8, v8, -2.0, 1.0
.LBB25_39:                              ;   in Loop: Header=BB25_17 Depth=1
	s_andn2_saveexec_b32 s0, s0
	s_cbranch_execz .LBB25_41
; %bb.40:                               ;   in Loop: Header=BB25_17 Depth=1
	v_mul_f32_e32 v8, v98, v98
	v_fmaak_f32 v16, s18, v8, 0x3ca908c9
	v_fmaak_f32 v16, v8, v16, 0xbd5c1c4e
	;; [unrolled: 1-line block ×4, first 2 shown]
	v_mul_f32_e64 v16, |v98|, v16
	v_fma_f32 v8, v8, v16, |v98|
.LBB25_41:                              ;   in Loop: Header=BB25_17 Depth=1
	s_or_b32 exec_lo, exec_lo, s0
	v_cmp_ngt_f32_e64 s0, 0x3f200000, |v99|
                                        ; implicit-def: $vgpr106
	s_and_saveexec_b32 s19, s0
	s_xor_b32 s0, exec_lo, s19
	s_cbranch_execz .LBB25_43
; %bb.42:                               ;   in Loop: Header=BB25_17 Depth=1
	v_add_f32_e64 v16, |v99|, |v99|
	v_mul_f32_e32 v106, 0x3fb8aa3b, v16
	v_cmp_ngt_f32_e32 vcc_lo, 0xc2ce8ed0, v16
	v_rndne_f32_e32 v107, v106
	v_fma_f32 v108, 0x3fb8aa3b, v16, -v106
	v_sub_f32_e32 v106, v106, v107
	v_fmac_f32_e32 v108, 0x32a5705f, v16
	v_cvt_i32_f32_e32 v107, v107
	v_add_f32_e32 v106, v106, v108
	v_exp_f32_e32 v106, v106
	v_ldexp_f32 v106, v106, v107
	v_cndmask_b32_e32 v106, 0, v106, vcc_lo
	v_cmp_nlt_f32_e32 vcc_lo, 0x42b17218, v16
	v_cndmask_b32_e32 v16, 0x7f800000, v106, vcc_lo
	v_add_f32_e32 v16, 1.0, v16
	v_rcp_f32_e32 v16, v16
	v_fma_f32 v106, v16, -2.0, 1.0
.LBB25_43:                              ;   in Loop: Header=BB25_17 Depth=1
	s_andn2_saveexec_b32 s0, s0
	s_cbranch_execz .LBB25_45
; %bb.44:                               ;   in Loop: Header=BB25_17 Depth=1
	v_mul_f32_e32 v16, v99, v99
	v_fmaak_f32 v106, s18, v16, 0x3ca908c9
	v_fmaak_f32 v106, v16, v106, 0xbd5c1c4e
	v_fmaak_f32 v106, v16, v106, 0x3e088382
	v_fmaak_f32 v106, v16, v106, 0xbeaaaa99
	v_mul_f32_e64 v106, |v99|, v106
	v_fma_f32 v106, v16, v106, |v99|
.LBB25_45:                              ;   in Loop: Header=BB25_17 Depth=1
	s_or_b32 exec_lo, exec_lo, s0
	v_cmp_ngt_f32_e64 s0, 0x3f200000, |v96|
                                        ; implicit-def: $vgpr107
	s_and_saveexec_b32 s19, s0
	s_xor_b32 s0, exec_lo, s19
	s_cbranch_execz .LBB25_47
; %bb.46:                               ;   in Loop: Header=BB25_17 Depth=1
	v_add_f32_e64 v16, |v96|, |v96|
	v_mul_f32_e32 v107, 0x3fb8aa3b, v16
	v_cmp_ngt_f32_e32 vcc_lo, 0xc2ce8ed0, v16
	v_rndne_f32_e32 v108, v107
	v_fma_f32 v109, 0x3fb8aa3b, v16, -v107
	v_sub_f32_e32 v107, v107, v108
	v_fmac_f32_e32 v109, 0x32a5705f, v16
	v_cvt_i32_f32_e32 v108, v108
	v_add_f32_e32 v107, v107, v109
	v_exp_f32_e32 v107, v107
	v_ldexp_f32 v107, v107, v108
	v_cndmask_b32_e32 v107, 0, v107, vcc_lo
	v_cmp_nlt_f32_e32 vcc_lo, 0x42b17218, v16
	v_cndmask_b32_e32 v16, 0x7f800000, v107, vcc_lo
	v_add_f32_e32 v16, 1.0, v16
	v_rcp_f32_e32 v16, v16
	v_fma_f32 v107, v16, -2.0, 1.0
.LBB25_47:                              ;   in Loop: Header=BB25_17 Depth=1
	s_andn2_saveexec_b32 s0, s0
	s_cbranch_execz .LBB25_49
; %bb.48:                               ;   in Loop: Header=BB25_17 Depth=1
	v_mul_f32_e32 v16, v96, v96
	v_fmaak_f32 v107, s18, v16, 0x3ca908c9
	v_fmaak_f32 v107, v16, v107, 0xbd5c1c4e
	;; [unrolled: 1-line block ×4, first 2 shown]
	v_mul_f32_e64 v107, |v96|, v107
	v_fma_f32 v107, v16, v107, |v96|
.LBB25_49:                              ;   in Loop: Header=BB25_17 Depth=1
	s_or_b32 exec_lo, exec_lo, s0
	v_cmp_ngt_f32_e64 s0, 0x3f200000, |v97|
                                        ; implicit-def: $vgpr108
	s_and_saveexec_b32 s19, s0
	s_xor_b32 s0, exec_lo, s19
	s_cbranch_execz .LBB25_51
; %bb.50:                               ;   in Loop: Header=BB25_17 Depth=1
	v_add_f32_e64 v16, |v97|, |v97|
	v_mul_f32_e32 v108, 0x3fb8aa3b, v16
	v_cmp_ngt_f32_e32 vcc_lo, 0xc2ce8ed0, v16
	v_rndne_f32_e32 v109, v108
	v_fma_f32 v110, 0x3fb8aa3b, v16, -v108
	v_sub_f32_e32 v108, v108, v109
	v_fmac_f32_e32 v110, 0x32a5705f, v16
	v_cvt_i32_f32_e32 v109, v109
	v_add_f32_e32 v108, v108, v110
	v_exp_f32_e32 v108, v108
	v_ldexp_f32 v108, v108, v109
	v_cndmask_b32_e32 v108, 0, v108, vcc_lo
	v_cmp_nlt_f32_e32 vcc_lo, 0x42b17218, v16
	v_cndmask_b32_e32 v16, 0x7f800000, v108, vcc_lo
	v_add_f32_e32 v16, 1.0, v16
	v_rcp_f32_e32 v16, v16
	v_fma_f32 v108, v16, -2.0, 1.0
.LBB25_51:                              ;   in Loop: Header=BB25_17 Depth=1
	s_andn2_saveexec_b32 s0, s0
	s_cbranch_execz .LBB25_53
; %bb.52:                               ;   in Loop: Header=BB25_17 Depth=1
	v_mul_f32_e32 v16, v97, v97
	v_fmaak_f32 v108, s18, v16, 0x3ca908c9
	v_fmaak_f32 v108, v16, v108, 0xbd5c1c4e
	;; [unrolled: 1-line block ×4, first 2 shown]
	v_mul_f32_e64 v108, |v97|, v108
	v_fma_f32 v108, v16, v108, |v97|
.LBB25_53:                              ;   in Loop: Header=BB25_17 Depth=1
	s_or_b32 exec_lo, exec_lo, s0
	v_cvt_f32_f16_e32 v16, v5
	v_bfi_b32 v98, 0x7fffffff, v8, v98
	v_cvt_f32_f16_e32 v8, v6
	v_bfi_b32 v99, 0x7fffffff, v106, v99
	v_cvt_f32_f16_e32 v5, v104
	v_cvt_f32_f16_e32 v6, v105
	v_fma_f32 v98, s15, v98, v16
	v_bfi_b32 v96, 0x7fffffff, v107, v96
	v_fma_f32 v99, s15, v99, v8
	v_bfi_b32 v104, 0x7fffffff, v108, v97
	v_cmp_ngt_f32_e64 s0, 0x3f200000, |v92|
	v_add_f32_e32 v105, 0x40051340, v98
	v_fma_f32 v97, s15, v96, v5
	v_add_f32_e32 v106, 0x40051340, v99
	v_fma_f32 v96, s15, v104, v6
	v_add_f32_e32 v104, 0x40051340, v97
	v_max3_f32 v105, v86, v105, v106
	v_add_f32_e32 v106, 0x40051340, v96
	v_max3_f32 v104, v105, v104, v106
                                        ; implicit-def: $vgpr106
	ds_bpermute_b32 v105, v1, v104
	s_waitcnt lgkmcnt(0)
	v_max_f32_e32 v105, v105, v105
	v_max_f32_e32 v104, v104, v105
	ds_bpermute_b32 v105, v103, v104
	s_waitcnt lgkmcnt(0)
	v_max_f32_e32 v105, v105, v105
	v_max_f32_e32 v104, v104, v105
	;; [unrolled: 4-line block ×4, first 2 shown]
	ds_bpermute_b32 v105, v4, v104
	s_and_saveexec_b32 s19, s0
	s_xor_b32 s0, exec_lo, s19
	s_cbranch_execz .LBB25_55
; %bb.54:                               ;   in Loop: Header=BB25_17 Depth=1
	v_add_f32_e64 v106, |v92|, |v92|
	v_mul_f32_e32 v107, 0x3fb8aa3b, v106
	v_cmp_ngt_f32_e32 vcc_lo, 0xc2ce8ed0, v106
	v_rndne_f32_e32 v108, v107
	v_fma_f32 v109, 0x3fb8aa3b, v106, -v107
	v_sub_f32_e32 v107, v107, v108
	v_fmac_f32_e32 v109, 0x32a5705f, v106
	v_cvt_i32_f32_e32 v108, v108
	v_add_f32_e32 v107, v107, v109
	v_exp_f32_e32 v107, v107
	v_ldexp_f32 v107, v107, v108
	v_cndmask_b32_e32 v107, 0, v107, vcc_lo
	v_cmp_nlt_f32_e32 vcc_lo, 0x42b17218, v106
	v_cndmask_b32_e32 v106, 0x7f800000, v107, vcc_lo
	v_add_f32_e32 v106, 1.0, v106
	v_rcp_f32_e32 v106, v106
	v_fma_f32 v106, v106, -2.0, 1.0
.LBB25_55:                              ;   in Loop: Header=BB25_17 Depth=1
	s_andn2_saveexec_b32 s0, s0
	s_cbranch_execz .LBB25_57
; %bb.56:                               ;   in Loop: Header=BB25_17 Depth=1
	v_mul_f32_e32 v106, v92, v92
	v_fmaak_f32 v107, s18, v106, 0x3ca908c9
	v_fmaak_f32 v107, v106, v107, 0xbd5c1c4e
	;; [unrolled: 1-line block ×4, first 2 shown]
	v_mul_f32_e64 v107, |v92|, v107
	v_fma_f32 v106, v106, v107, |v92|
.LBB25_57:                              ;   in Loop: Header=BB25_17 Depth=1
	s_or_b32 exec_lo, exec_lo, s0
	v_cmp_ngt_f32_e64 s0, 0x3f200000, |v94|
                                        ; implicit-def: $vgpr107
	s_and_saveexec_b32 s19, s0
	s_xor_b32 s0, exec_lo, s19
	s_cbranch_execz .LBB25_59
; %bb.58:                               ;   in Loop: Header=BB25_17 Depth=1
	v_add_f32_e64 v107, |v94|, |v94|
	v_mul_f32_e32 v108, 0x3fb8aa3b, v107
	v_cmp_ngt_f32_e32 vcc_lo, 0xc2ce8ed0, v107
	v_rndne_f32_e32 v109, v108
	v_fma_f32 v110, 0x3fb8aa3b, v107, -v108
	v_sub_f32_e32 v108, v108, v109
	v_fmac_f32_e32 v110, 0x32a5705f, v107
	v_cvt_i32_f32_e32 v109, v109
	v_add_f32_e32 v108, v108, v110
	v_exp_f32_e32 v108, v108
	v_ldexp_f32 v108, v108, v109
	v_cndmask_b32_e32 v108, 0, v108, vcc_lo
	v_cmp_nlt_f32_e32 vcc_lo, 0x42b17218, v107
	v_cndmask_b32_e32 v107, 0x7f800000, v108, vcc_lo
	v_add_f32_e32 v107, 1.0, v107
	v_rcp_f32_e32 v107, v107
	v_fma_f32 v107, v107, -2.0, 1.0
.LBB25_59:                              ;   in Loop: Header=BB25_17 Depth=1
	s_andn2_saveexec_b32 s0, s0
	s_cbranch_execz .LBB25_61
; %bb.60:                               ;   in Loop: Header=BB25_17 Depth=1
	v_mul_f32_e32 v107, v94, v94
	v_fmaak_f32 v108, s18, v107, 0x3ca908c9
	v_fmaak_f32 v108, v107, v108, 0xbd5c1c4e
	;; [unrolled: 1-line block ×4, first 2 shown]
	v_mul_f32_e64 v108, |v94|, v108
	v_fma_f32 v107, v107, v108, |v94|
.LBB25_61:                              ;   in Loop: Header=BB25_17 Depth=1
	s_or_b32 exec_lo, exec_lo, s0
	v_cmp_ngt_f32_e64 s0, 0x3f200000, |v95|
                                        ; implicit-def: $vgpr108
	s_and_saveexec_b32 s19, s0
	s_xor_b32 s0, exec_lo, s19
	s_cbranch_execz .LBB25_63
; %bb.62:                               ;   in Loop: Header=BB25_17 Depth=1
	v_add_f32_e64 v108, |v95|, |v95|
	v_mul_f32_e32 v109, 0x3fb8aa3b, v108
	v_cmp_ngt_f32_e32 vcc_lo, 0xc2ce8ed0, v108
	v_rndne_f32_e32 v110, v109
	v_fma_f32 v111, 0x3fb8aa3b, v108, -v109
	v_sub_f32_e32 v109, v109, v110
	v_fmac_f32_e32 v111, 0x32a5705f, v108
	v_cvt_i32_f32_e32 v110, v110
	v_add_f32_e32 v109, v109, v111
	v_exp_f32_e32 v109, v109
	v_ldexp_f32 v109, v109, v110
	v_cndmask_b32_e32 v109, 0, v109, vcc_lo
	v_cmp_nlt_f32_e32 vcc_lo, 0x42b17218, v108
	v_cndmask_b32_e32 v108, 0x7f800000, v109, vcc_lo
	v_add_f32_e32 v108, 1.0, v108
	v_rcp_f32_e32 v108, v108
	v_fma_f32 v108, v108, -2.0, 1.0
.LBB25_63:                              ;   in Loop: Header=BB25_17 Depth=1
	s_andn2_saveexec_b32 s0, s0
	s_cbranch_execz .LBB25_65
; %bb.64:                               ;   in Loop: Header=BB25_17 Depth=1
	v_mul_f32_e32 v108, v95, v95
	v_fmaak_f32 v109, s18, v108, 0x3ca908c9
	v_fmaak_f32 v109, v108, v109, 0xbd5c1c4e
	;; [unrolled: 1-line block ×4, first 2 shown]
	v_mul_f32_e64 v109, |v95|, v109
	v_fma_f32 v108, v108, v109, |v95|
.LBB25_65:                              ;   in Loop: Header=BB25_17 Depth=1
	s_or_b32 exec_lo, exec_lo, s0
	v_cmp_ngt_f32_e64 s0, 0x3f200000, |v93|
                                        ; implicit-def: $vgpr109
	s_and_saveexec_b32 s19, s0
	s_xor_b32 s0, exec_lo, s19
	s_cbranch_execz .LBB25_67
; %bb.66:                               ;   in Loop: Header=BB25_17 Depth=1
	v_add_f32_e64 v109, |v93|, |v93|
	v_mul_f32_e32 v110, 0x3fb8aa3b, v109
	v_cmp_ngt_f32_e32 vcc_lo, 0xc2ce8ed0, v109
	v_rndne_f32_e32 v111, v110
	v_fma_f32 v112, 0x3fb8aa3b, v109, -v110
	v_sub_f32_e32 v110, v110, v111
	v_fmac_f32_e32 v112, 0x32a5705f, v109
	v_cvt_i32_f32_e32 v111, v111
	v_add_f32_e32 v110, v110, v112
	v_exp_f32_e32 v110, v110
	v_ldexp_f32 v110, v110, v111
	v_cndmask_b32_e32 v110, 0, v110, vcc_lo
	v_cmp_nlt_f32_e32 vcc_lo, 0x42b17218, v109
	v_cndmask_b32_e32 v109, 0x7f800000, v110, vcc_lo
	v_add_f32_e32 v109, 1.0, v109
	v_rcp_f32_e32 v109, v109
	v_fma_f32 v109, v109, -2.0, 1.0
.LBB25_67:                              ;   in Loop: Header=BB25_17 Depth=1
	s_andn2_saveexec_b32 s0, s0
	s_cbranch_execz .LBB25_69
; %bb.68:                               ;   in Loop: Header=BB25_17 Depth=1
	v_mul_f32_e32 v109, v93, v93
	v_fmaak_f32 v110, s18, v109, 0x3ca908c9
	v_fmaak_f32 v110, v109, v110, 0xbd5c1c4e
	;; [unrolled: 1-line block ×4, first 2 shown]
	v_mul_f32_e64 v110, |v93|, v110
	v_fma_f32 v109, v109, v110, |v93|
.LBB25_69:                              ;   in Loop: Header=BB25_17 Depth=1
	s_or_b32 exec_lo, exec_lo, s0
	v_bfi_b32 v92, 0x7fffffff, v106, v92
	v_bfi_b32 v94, 0x7fffffff, v107, v94
	;; [unrolled: 1-line block ×3, first 2 shown]
	v_cmp_ngt_f32_e64 s0, 0x3f200000, |v90|
	v_fma_f32 v95, s15, v92, v16
	v_fma_f32 v94, s15, v94, v8
	v_bfi_b32 v92, 0x7fffffff, v109, v93
	v_fma_f32 v93, s15, v106, v5
	v_add_f32_e32 v106, 0x40051340, v95
	v_add_f32_e32 v107, 0x40051340, v94
	v_fma_f32 v92, s15, v92, v6
	v_add_f32_e32 v108, 0x40051340, v93
	v_max3_f32 v106, v84, v106, v107
	v_add_f32_e32 v107, 0x40051340, v92
	v_max3_f32 v106, v106, v108, v107
                                        ; implicit-def: $vgpr108
	ds_bpermute_b32 v107, v1, v106
	s_waitcnt lgkmcnt(0)
	v_max_f32_e32 v107, v107, v107
	v_max_f32_e32 v106, v106, v107
	ds_bpermute_b32 v107, v103, v106
	s_waitcnt lgkmcnt(0)
	v_max_f32_e32 v107, v107, v107
	v_max_f32_e32 v106, v106, v107
	;; [unrolled: 4-line block ×4, first 2 shown]
	ds_bpermute_b32 v107, v4, v106
	s_and_saveexec_b32 s19, s0
	s_xor_b32 s0, exec_lo, s19
	s_cbranch_execz .LBB25_71
; %bb.70:                               ;   in Loop: Header=BB25_17 Depth=1
	v_add_f32_e64 v108, |v90|, |v90|
	v_mul_f32_e32 v109, 0x3fb8aa3b, v108
	v_cmp_ngt_f32_e32 vcc_lo, 0xc2ce8ed0, v108
	v_rndne_f32_e32 v110, v109
	v_fma_f32 v111, 0x3fb8aa3b, v108, -v109
	v_sub_f32_e32 v109, v109, v110
	v_fmac_f32_e32 v111, 0x32a5705f, v108
	v_cvt_i32_f32_e32 v110, v110
	v_add_f32_e32 v109, v109, v111
	v_exp_f32_e32 v109, v109
	v_ldexp_f32 v109, v109, v110
	v_cndmask_b32_e32 v109, 0, v109, vcc_lo
	v_cmp_nlt_f32_e32 vcc_lo, 0x42b17218, v108
	v_cndmask_b32_e32 v108, 0x7f800000, v109, vcc_lo
	v_add_f32_e32 v108, 1.0, v108
	v_rcp_f32_e32 v108, v108
	v_fma_f32 v108, v108, -2.0, 1.0
.LBB25_71:                              ;   in Loop: Header=BB25_17 Depth=1
	s_andn2_saveexec_b32 s0, s0
	s_cbranch_execz .LBB25_73
; %bb.72:                               ;   in Loop: Header=BB25_17 Depth=1
	v_mul_f32_e32 v108, v90, v90
	v_fmaak_f32 v109, s18, v108, 0x3ca908c9
	v_fmaak_f32 v109, v108, v109, 0xbd5c1c4e
	v_fmaak_f32 v109, v108, v109, 0x3e088382
	v_fmaak_f32 v109, v108, v109, 0xbeaaaa99
	v_mul_f32_e64 v109, |v90|, v109
	v_fma_f32 v108, v108, v109, |v90|
.LBB25_73:                              ;   in Loop: Header=BB25_17 Depth=1
	s_or_b32 exec_lo, exec_lo, s0
	v_cmp_ngt_f32_e64 s0, 0x3f200000, |v91|
                                        ; implicit-def: $vgpr109
	s_and_saveexec_b32 s19, s0
	s_xor_b32 s0, exec_lo, s19
	s_cbranch_execz .LBB25_75
; %bb.74:                               ;   in Loop: Header=BB25_17 Depth=1
	v_add_f32_e64 v109, |v91|, |v91|
	v_mul_f32_e32 v110, 0x3fb8aa3b, v109
	v_cmp_ngt_f32_e32 vcc_lo, 0xc2ce8ed0, v109
	v_rndne_f32_e32 v111, v110
	v_fma_f32 v112, 0x3fb8aa3b, v109, -v110
	v_sub_f32_e32 v110, v110, v111
	v_fmac_f32_e32 v112, 0x32a5705f, v109
	v_cvt_i32_f32_e32 v111, v111
	v_add_f32_e32 v110, v110, v112
	v_exp_f32_e32 v110, v110
	v_ldexp_f32 v110, v110, v111
	v_cndmask_b32_e32 v110, 0, v110, vcc_lo
	v_cmp_nlt_f32_e32 vcc_lo, 0x42b17218, v109
	v_cndmask_b32_e32 v109, 0x7f800000, v110, vcc_lo
	v_add_f32_e32 v109, 1.0, v109
	v_rcp_f32_e32 v109, v109
	v_fma_f32 v109, v109, -2.0, 1.0
.LBB25_75:                              ;   in Loop: Header=BB25_17 Depth=1
	s_andn2_saveexec_b32 s0, s0
	s_cbranch_execz .LBB25_77
; %bb.76:                               ;   in Loop: Header=BB25_17 Depth=1
	v_mul_f32_e32 v109, v91, v91
	v_fmaak_f32 v110, s18, v109, 0x3ca908c9
	v_fmaak_f32 v110, v109, v110, 0xbd5c1c4e
	;; [unrolled: 1-line block ×4, first 2 shown]
	v_mul_f32_e64 v110, |v91|, v110
	v_fma_f32 v109, v109, v110, |v91|
.LBB25_77:                              ;   in Loop: Header=BB25_17 Depth=1
	s_or_b32 exec_lo, exec_lo, s0
	v_cmp_ngt_f32_e64 s0, 0x3f200000, |v89|
                                        ; implicit-def: $vgpr110
	s_and_saveexec_b32 s19, s0
	s_xor_b32 s0, exec_lo, s19
	s_cbranch_execz .LBB25_79
; %bb.78:                               ;   in Loop: Header=BB25_17 Depth=1
	v_add_f32_e64 v110, |v89|, |v89|
	v_mul_f32_e32 v111, 0x3fb8aa3b, v110
	v_cmp_ngt_f32_e32 vcc_lo, 0xc2ce8ed0, v110
	v_rndne_f32_e32 v112, v111
	v_fma_f32 v113, 0x3fb8aa3b, v110, -v111
	v_sub_f32_e32 v111, v111, v112
	v_fmac_f32_e32 v113, 0x32a5705f, v110
	v_cvt_i32_f32_e32 v112, v112
	v_add_f32_e32 v111, v111, v113
	v_exp_f32_e32 v111, v111
	v_ldexp_f32 v111, v111, v112
	v_cndmask_b32_e32 v111, 0, v111, vcc_lo
	v_cmp_nlt_f32_e32 vcc_lo, 0x42b17218, v110
	v_cndmask_b32_e32 v110, 0x7f800000, v111, vcc_lo
	v_add_f32_e32 v110, 1.0, v110
	v_rcp_f32_e32 v110, v110
	v_fma_f32 v110, v110, -2.0, 1.0
.LBB25_79:                              ;   in Loop: Header=BB25_17 Depth=1
	s_andn2_saveexec_b32 s0, s0
	s_cbranch_execz .LBB25_81
; %bb.80:                               ;   in Loop: Header=BB25_17 Depth=1
	v_mul_f32_e32 v110, v89, v89
	v_fmaak_f32 v111, s18, v110, 0x3ca908c9
	v_fmaak_f32 v111, v110, v111, 0xbd5c1c4e
	;; [unrolled: 1-line block ×4, first 2 shown]
	v_mul_f32_e64 v111, |v89|, v111
	v_fma_f32 v110, v110, v111, |v89|
.LBB25_81:                              ;   in Loop: Header=BB25_17 Depth=1
	s_or_b32 exec_lo, exec_lo, s0
	v_cmp_ngt_f32_e64 s0, 0x3f200000, |v80|
                                        ; implicit-def: $vgpr111
	s_and_saveexec_b32 s19, s0
	s_xor_b32 s0, exec_lo, s19
	s_cbranch_execz .LBB25_83
; %bb.82:                               ;   in Loop: Header=BB25_17 Depth=1
	v_add_f32_e64 v111, |v80|, |v80|
	v_mul_f32_e32 v112, 0x3fb8aa3b, v111
	v_cmp_ngt_f32_e32 vcc_lo, 0xc2ce8ed0, v111
	v_rndne_f32_e32 v113, v112
	v_fma_f32 v114, 0x3fb8aa3b, v111, -v112
	v_sub_f32_e32 v112, v112, v113
	v_fmac_f32_e32 v114, 0x32a5705f, v111
	v_cvt_i32_f32_e32 v113, v113
	v_add_f32_e32 v112, v112, v114
	v_exp_f32_e32 v112, v112
	v_ldexp_f32 v112, v112, v113
	v_cndmask_b32_e32 v112, 0, v112, vcc_lo
	v_cmp_nlt_f32_e32 vcc_lo, 0x42b17218, v111
	v_cndmask_b32_e32 v111, 0x7f800000, v112, vcc_lo
	v_add_f32_e32 v111, 1.0, v111
	v_rcp_f32_e32 v111, v111
	v_fma_f32 v111, v111, -2.0, 1.0
.LBB25_83:                              ;   in Loop: Header=BB25_17 Depth=1
	s_andn2_saveexec_b32 s0, s0
	s_cbranch_execz .LBB25_85
; %bb.84:                               ;   in Loop: Header=BB25_17 Depth=1
	v_mul_f32_e32 v111, v80, v80
	v_fmaak_f32 v112, s18, v111, 0x3ca908c9
	v_fmaak_f32 v112, v111, v112, 0xbd5c1c4e
	;; [unrolled: 1-line block ×4, first 2 shown]
	v_mul_f32_e64 v112, |v80|, v112
	v_fma_f32 v111, v111, v112, |v80|
.LBB25_85:                              ;   in Loop: Header=BB25_17 Depth=1
	s_or_b32 exec_lo, exec_lo, s0
	v_bfi_b32 v90, 0x7fffffff, v108, v90
	v_bfi_b32 v91, 0x7fffffff, v109, v91
	;; [unrolled: 1-line block ×4, first 2 shown]
	v_max_f32_e32 v108, v3, v3
	v_fmac_f32_e32 v16, s15, v90
	v_fmac_f32_e32 v8, s15, v91
	;; [unrolled: 1-line block ×4, first 2 shown]
	s_waitcnt lgkmcnt(0)
	v_max_f32_e32 v90, v107, v107
	v_add_f32_e32 v80, 0x40051340, v16
	v_add_f32_e32 v89, 0x40051340, v8
	v_max_f32_e32 v91, v106, v106
	v_add_f32_e32 v106, 0x40051340, v5
	v_add_f32_e32 v107, 0x40051340, v6
	v_max_f32_e32 v109, v2, v2
	v_max3_f32 v80, v82, v80, v89
	s_mul_hi_i32 s25, s8, s9
	s_mul_i32 s24, s8, s9
	v_max_f32_e32 v105, v105, v105
	s_lshl_b64 s[24:25], s[24:25], 2
	v_max3_f32 v80, v80, v106, v107
	v_max_f32_e32 v104, v104, v104
	s_add_u32 s0, s12, s24
	v_lshlrev_b32_e32 v89, 2, v31
	v_max_f32_e32 v3, v91, v90
	ds_bpermute_b32 v106, v1, v80
	v_max_f32_e32 v1, v109, v108
	s_addc_u32 s19, s13, s25
	v_add_co_u32 v90, vcc_lo, s0, v27
	v_max_f32_e32 v2, v104, v105
	v_sub_f32_e32 v113, v100, v1
	v_add_co_ci_u32_e64 v91, null, s19, v28, vcc_lo
	v_add_co_u32 v104, vcc_lo, s0, v29
	v_add_co_ci_u32_e64 v105, null, s19, v30, vcc_lo
	v_add_co_u32 v90, vcc_lo, v90, v89
	;; [unrolled: 2-line block ×3, first 2 shown]
	v_add_co_ci_u32_e64 v110, null, 0, v105, vcc_lo
	s_waitcnt lgkmcnt(0)
	v_max_f32_e32 v100, v106, v106
	s_barrier
	buffer_gl0_inv
	v_sub_f32_e32 v114, v101, v1
	v_max_f32_e32 v80, v80, v100
	v_sub_f32_e32 v115, v102, v1
	v_sub_f32_e32 v116, v98, v2
	;; [unrolled: 1-line block ×4, first 2 shown]
	ds_bpermute_b32 v119, v103, v80
	s_clause 0x3
	global_load_dwordx4 v[97:100], v[90:91], off
	global_load_dwordx4 v[101:104], v[90:91], off offset:512
	global_load_dwordx4 v[105:108], v[109:110], off
	global_load_dwordx4 v[109:112], v[109:110], off offset:512
	v_sub_f32_e32 v15, v15, v1
	v_mul_f32_e32 v121, 0x3fb8aa3b, v113
	v_sub_f32_e32 v88, v88, v1
	v_mul_f32_e32 v122, 0x3fb8aa3b, v114
	v_mul_f32_e32 v123, 0x3fb8aa3b, v115
	;; [unrolled: 1-line block ×3, first 2 shown]
	v_fma_f32 v128, 0x3fb8aa3b, v113, -v121
	v_rndne_f32_e32 v129, v121
	v_mul_f32_e32 v124, 0x3fb8aa3b, v88
	v_fma_f32 v130, 0x3fb8aa3b, v114, -v122
	v_fma_f32 v90, 0x3fb8aa3b, v15, -v120
	v_rndne_f32_e32 v91, v120
	v_rndne_f32_e32 v131, v122
	v_fmac_f32_e32 v128, 0x32a5705f, v113
	v_sub_f32_e32 v121, v121, v129
	v_fmac_f32_e32 v90, 0x32a5705f, v15
	v_sub_f32_e32 v120, v120, v91
	v_fma_f32 v133, 0x3fb8aa3b, v88, -v124
	s_waitcnt lgkmcnt(0)
	v_max_f32_e32 v119, v119, v119
	v_rndne_f32_e32 v134, v124
	v_fmac_f32_e32 v130, 0x32a5705f, v114
	v_add_f32_e32 v90, v120, v90
	v_sub_f32_e32 v122, v122, v131
	v_max_f32_e32 v80, v80, v119
	v_add_f32_e32 v120, v121, v128
	v_cvt_i32_f32_e32 v91, v91
	v_exp_f32_e32 v90, v90
	v_fmac_f32_e32 v133, 0x32a5705f, v88
	ds_bpermute_b32 v14, v14, v80
	v_sub_f32_e32 v124, v124, v134
	v_add_f32_e32 v121, v122, v130
	v_exp_f32_e32 v120, v120
	v_cvt_i32_f32_e32 v129, v129
	v_cmp_ngt_f32_e32 vcc_lo, 0xc2ce8ed0, v15
	v_cvt_i32_f32_e32 v131, v131
	v_exp_f32_e32 v121, v121
	v_ldexp_f32 v90, v90, v91
	v_fma_f32 v132, 0x3fb8aa3b, v115, -v123
	v_rndne_f32_e32 v119, v123
	v_mul_f32_e32 v125, 0x3fb8aa3b, v116
	v_mul_f32_e32 v126, 0x3fb8aa3b, v117
	v_ldexp_f32 v91, v120, v129
	v_cndmask_b32_e32 v90, 0, v90, vcc_lo
	v_cmp_ngt_f32_e32 vcc_lo, 0xc2ce8ed0, v113
	v_fmac_f32_e32 v132, 0x32a5705f, v115
	v_ldexp_f32 v120, v121, v131
	v_sub_f32_e32 v123, v123, v119
	v_cvt_i32_f32_e32 v119, v119
	s_waitcnt lgkmcnt(0)
	v_max_f32_e32 v14, v14, v14
	v_cndmask_b32_e32 v91, 0, v91, vcc_lo
	v_cmp_ngt_f32_e32 vcc_lo, 0xc2ce8ed0, v114
	v_add_f32_e32 v122, v123, v132
	v_fma_f32 v135, 0x3fb8aa3b, v116, -v125
	v_max_f32_e32 v14, v80, v14
	v_add_f32_e32 v80, v124, v133
	v_cvt_i32_f32_e32 v124, v134
	v_cndmask_b32_e32 v120, 0, v120, vcc_lo
	v_cmp_ngt_f32_e32 vcc_lo, 0xc2ce8ed0, v88
	ds_bpermute_b32 v7, v7, v14
	v_exp_f32_e32 v80, v80
	v_exp_f32_e32 v122, v122
	v_rndne_f32_e32 v136, v125
	v_fma_f32 v137, 0x3fb8aa3b, v117, -v126
	v_rndne_f32_e32 v138, v126
	v_fmac_f32_e32 v135, 0x32a5705f, v116
	v_mul_f32_e32 v127, 0x3fb8aa3b, v118
	v_sub_f32_e32 v125, v125, v136
	v_fmac_f32_e32 v137, 0x32a5705f, v117
	v_sub_f32_e32 v126, v126, v138
	v_ldexp_f32 v80, v80, v124
	v_ldexp_f32 v119, v122, v119
	v_add_f32_e32 v123, v125, v135
	v_cvt_i32_f32_e32 v125, v136
	v_sub_f32_e32 v94, v94, v3
	v_cndmask_b32_e32 v80, 0, v80, vcc_lo
	v_cmp_nlt_f32_e32 vcc_lo, 0x42b17218, v15
	v_exp_f32_e32 v123, v123
	s_or_b32 s0, s8, 16
	s_waitcnt lgkmcnt(0)
	v_max_f32_e32 v7, v7, v7
	s_mul_hi_i32 s25, s0, s9
	v_cndmask_b32_e32 v15, 0x7f800000, v90, vcc_lo
	v_cmp_nlt_f32_e32 vcc_lo, 0x42b17218, v113
	s_mul_i32 s24, s0, s9
	v_max_f32_e32 v7, v14, v7
	s_lshl_b64 s[24:25], s[24:25], 2
	v_cndmask_b32_e32 v14, 0x7f800000, v91, vcc_lo
	v_cmp_nlt_f32_e32 vcc_lo, 0x42b17218, v88
	ds_bpermute_b32 v4, v4, v7
	s_add_u32 s0, s12, s24
	s_addc_u32 s19, s13, s25
	v_add_f32_e32 v91, v15, v14
	v_cndmask_b32_e32 v80, 0x7f800000, v80, vcc_lo
	v_cmp_ngt_f32_e32 vcc_lo, 0xc2ce8ed0, v115
	v_cvt_f16_f32_e32 v113, v80
	v_cndmask_b32_e32 v88, 0, v119, vcc_lo
	v_cmp_nlt_f32_e32 vcc_lo, 0x42b17218, v114
	v_cvt_f16_f32_e32 v114, v15
	v_cndmask_b32_e32 v90, 0x7f800000, v120, vcc_lo
	v_cmp_nlt_f32_e32 vcc_lo, 0x42b17218, v115
	s_waitcnt lgkmcnt(0)
	v_max_f32_e32 v4, v4, v4
	v_add_f32_e32 v15, v90, v91
	v_cndmask_b32_e32 v88, 0x7f800000, v88, vcc_lo
	v_mul_u32_u24_sdwa v91, v113, v47 dst_sel:DWORD dst_unused:UNUSED_PAD src0_sel:WORD_0 src1_sel:DWORD
	v_cvt_f16_f32_e32 v113, v14
	v_max_f32_e32 v4, v7, v4
	v_add_f32_e32 v7, v126, v137
	v_add_f32_e32 v14, v88, v15
	v_pk_mul_f16 v124, v73, v91
	v_fma_f32 v15, 0x3fb8aa3b, v118, -v127
	v_rndne_f32_e32 v73, v127
	v_pk_mul_f16 v119, v76, v91
	v_pk_mul_f16 v128, v74, v91
	v_sub_f32_e32 v74, v86, v2
	v_exp_f32_e32 v7, v7
	v_fmac_f32_e32 v15, 0x32a5705f, v118
	v_sub_f32_e32 v76, v127, v73
	v_cvt_f16_f32_e32 v115, v88
	v_pk_mul_f16 v88, v78, v91
	v_pk_mul_f16 v121, v75, v91
	;; [unrolled: 1-line block ×3, first 2 shown]
	v_ldexp_f32 v75, v123, v125
	v_cmp_ngt_f32_e32 vcc_lo, 0xc2ce8ed0, v116
	v_cvt_i32_f32_e32 v77, v138
	v_sub_f32_e32 v78, v96, v2
	v_add_f32_e32 v15, v76, v15
	v_mul_f32_e32 v76, 0x3fb8aa3b, v74
	v_pk_mul_f16 v120, v79, v91
	v_fmac_f32_e32 v14, v87, v80
	v_cndmask_b32_e32 v75, 0, v75, vcc_lo
	v_cmp_nlt_f32_e32 vcc_lo, 0x42b17218, v116
	v_mul_f32_e32 v79, 0x3fb8aa3b, v78
	v_ldexp_f32 v7, v7, v77
	v_fma_f32 v77, 0x3fb8aa3b, v74, -v76
	v_rndne_f32_e32 v80, v76
	v_cndmask_b32_e32 v75, 0x7f800000, v75, vcc_lo
	v_exp_f32_e32 v15, v15
	v_fma_f32 v86, 0x3fb8aa3b, v78, -v79
	v_rndne_f32_e32 v87, v79
	v_fmac_f32_e32 v77, 0x32a5705f, v74
	v_sub_f32_e32 v76, v76, v80
	v_cmp_ngt_f32_e32 vcc_lo, 0xc2ce8ed0, v117
	v_cvt_i32_f32_e32 v73, v73
	v_fmac_f32_e32 v86, 0x32a5705f, v78
	v_sub_f32_e32 v79, v79, v87
	v_add_f32_e32 v76, v76, v77
	v_cndmask_b32_e32 v7, 0, v7, vcc_lo
	v_cmp_nlt_f32_e32 vcc_lo, 0x42b17218, v117
	v_ldexp_f32 v15, v15, v73
	v_add_f32_e32 v73, v79, v86
	v_exp_f32_e32 v76, v76
	v_cvt_i32_f32_e32 v79, v80
	v_cndmask_b32_e32 v7, 0x7f800000, v7, vcc_lo
	v_cmp_ngt_f32_e32 vcc_lo, 0xc2ce8ed0, v118
	v_exp_f32_e32 v73, v73
	v_cvt_i32_f32_e32 v80, v87
	v_sub_f32_e32 v8, v8, v4
	v_add_f32_e32 v77, v75, v7
	v_cndmask_b32_e32 v15, 0, v15, vcc_lo
	v_cmp_nlt_f32_e32 vcc_lo, 0x42b17218, v118
	v_ldexp_f32 v76, v76, v79
	v_sub_f32_e32 v79, v95, v3
	v_sub_f32_e32 v5, v5, v4
	;; [unrolled: 1-line block ×3, first 2 shown]
	v_cndmask_b32_e32 v15, 0x7f800000, v15, vcc_lo
	v_cmp_ngt_f32_e32 vcc_lo, 0xc2ce8ed0, v74
	v_ldexp_f32 v73, v73, v80
	v_cvt_f16_f32_e32 v75, v75
	v_cvt_f16_f32_e32 v7, v7
	v_add_f32_e32 v77, v15, v77
	v_cndmask_b32_e32 v76, 0, v76, vcc_lo
	v_cmp_ngt_f32_e32 vcc_lo, 0xc2ce8ed0, v78
	v_cvt_f16_f32_e32 v80, v15
	v_cvt_f16_f32_e32 v90, v90
	v_pack_b32_f16 v7, v113, v7
	v_cndmask_b32_e32 v73, 0, v73, vcc_lo
	v_cmp_nlt_f32_e32 vcc_lo, 0x42b17218, v74
	v_cndmask_b32_e32 v74, 0x7f800000, v76, vcc_lo
	v_mul_f32_e32 v76, 0x3fb8aa3b, v79
	v_cmp_nlt_f32_e32 vcc_lo, 0x42b17218, v78
	v_cvt_f16_f32_e32 v78, v74
	v_fma_f32 v86, 0x3fb8aa3b, v79, -v76
	v_cndmask_b32_e32 v73, 0x7f800000, v73, vcc_lo
	v_rndne_f32_e32 v87, v76
	v_cmp_ngt_f32_e32 vcc_lo, 0xc2ce8ed0, v79
	v_mul_u32_u24_sdwa v95, v78, v47 dst_sel:DWORD dst_unused:UNUSED_PAD src0_sel:WORD_0 src1_sel:DWORD
	v_fmac_f32_e32 v86, 0x32a5705f, v79
	v_add_f32_e32 v15, v73, v77
	v_sub_f32_e32 v76, v76, v87
	v_mul_f32_e32 v77, 0x3fb8aa3b, v94
	v_pk_mul_f16 v96, v71, v95
	v_pk_mul_f16 v116, v70, v95
	v_fmac_f32_e32 v15, v85, v74
	v_pk_mul_f16 v85, v72, v95
	v_add_f32_e32 v72, v76, v86
	v_fma_f32 v74, 0x3fb8aa3b, v94, -v77
	v_rndne_f32_e32 v76, v77
	v_pk_mul_f16 v86, v69, v95
	v_cvt_f16_f32_e32 v73, v73
	v_exp_f32_e32 v69, v72
	v_fmac_f32_e32 v74, 0x32a5705f, v94
	v_sub_f32_e32 v71, v77, v76
	v_sub_f32_e32 v72, v93, v3
	v_pk_mul_f16 v93, v68, v95
	v_cvt_i32_f32_e32 v68, v87
	v_pk_mul_f16 v87, v66, v95
	v_add_f32_e32 v70, v71, v74
	v_mul_f32_e32 v71, 0x3fb8aa3b, v72
	v_sub_f32_e32 v66, v84, v3
	v_ldexp_f32 v68, v69, v68
	v_cvt_i32_f32_e32 v76, v76
	v_exp_f32_e32 v69, v70
	v_fma_f32 v70, 0x3fb8aa3b, v72, -v71
	v_rndne_f32_e32 v74, v71
	v_cndmask_b32_e32 v68, 0, v68, vcc_lo
	v_sub_f32_e32 v77, v92, v3
	v_cmp_nlt_f32_e32 vcc_lo, 0x42b17218, v79
	v_fmac_f32_e32 v70, 0x32a5705f, v72
	v_sub_f32_e32 v71, v71, v74
	v_cvt_i32_f32_e32 v74, v74
	v_ldexp_f32 v69, v69, v76
	v_mul_f32_e32 v76, 0x3fb8aa3b, v66
	v_add_f32_e32 v70, v71, v70
	v_cndmask_b32_e32 v68, 0x7f800000, v68, vcc_lo
	v_mul_f32_e32 v71, 0x3fb8aa3b, v77
	v_cmp_ngt_f32_e32 vcc_lo, 0xc2ce8ed0, v94
	v_fma_f32 v84, 0x3fb8aa3b, v66, -v76
	v_exp_f32_e32 v70, v70
	v_rndne_f32_e32 v92, v76
	v_fma_f32 v78, 0x3fb8aa3b, v77, -v71
	v_cndmask_b32_e32 v69, 0, v69, vcc_lo
	v_rndne_f32_e32 v79, v71
	v_fmac_f32_e32 v84, 0x32a5705f, v66
	v_sub_f32_e32 v76, v76, v92
	v_cmp_nlt_f32_e32 vcc_lo, 0x42b17218, v94
	v_fmac_f32_e32 v78, 0x32a5705f, v77
	v_sub_f32_e32 v71, v71, v79
	v_pk_mul_f16 v94, v65, v95
	v_ldexp_f32 v65, v70, v74
	v_cndmask_b32_e32 v69, 0x7f800000, v69, vcc_lo
	v_add_f32_e32 v70, v76, v84
	v_cmp_ngt_f32_e32 vcc_lo, 0xc2ce8ed0, v72
	v_add_f32_e32 v71, v71, v78
	v_sub_f32_e32 v76, v16, v4
	v_add_f32_e32 v74, v68, v69
	v_exp_f32_e32 v70, v70
	v_cndmask_b32_e32 v65, 0, v65, vcc_lo
	v_cmp_nlt_f32_e32 vcc_lo, 0x42b17218, v72
	v_exp_f32_e32 v71, v71
	v_cvt_i32_f32_e32 v72, v79
	v_mul_f32_e32 v78, 0x3fb8aa3b, v76
	v_cvt_f16_f32_e32 v68, v68
	v_cndmask_b32_e32 v16, 0x7f800000, v65, vcc_lo
	v_cvt_i32_f32_e32 v65, v92
	v_cmp_ngt_f32_e32 vcc_lo, 0xc2ce8ed0, v66
	v_cvt_f16_f32_e32 v69, v69
	v_add_f32_e32 v74, v16, v74
	v_ldexp_f32 v65, v70, v65
	v_ldexp_f32 v70, v71, v72
	v_fma_f32 v71, 0x3fb8aa3b, v76, -v78
	v_rndne_f32_e32 v72, v78
	v_cndmask_b32_e32 v65, 0, v65, vcc_lo
	v_cmp_ngt_f32_e32 vcc_lo, 0xc2ce8ed0, v77
	v_fmac_f32_e32 v71, 0x32a5705f, v76
	v_sub_f32_e32 v78, v78, v72
	v_cndmask_b32_e32 v70, 0, v70, vcc_lo
	v_cmp_nlt_f32_e32 vcc_lo, 0x42b17218, v66
	v_cndmask_b32_e32 v65, 0x7f800000, v65, vcc_lo
	v_cmp_nlt_f32_e32 vcc_lo, 0x42b17218, v77
	v_cvt_f16_f32_e32 v77, v16
	v_cndmask_b32_e32 v66, 0x7f800000, v70, vcc_lo
	v_add_f32_e32 v70, v78, v71
	v_cvt_f16_f32_e32 v71, v65
	v_cmp_ngt_f32_e32 vcc_lo, 0xc2ce8ed0, v76
	v_add_f32_e32 v16, v66, v74
	v_exp_f32_e32 v70, v70
	v_mul_u32_u24_sdwa v84, v71, v47 dst_sel:DWORD dst_unused:UNUSED_PAD src0_sel:WORD_0 src1_sel:DWORD
	v_mul_f32_e32 v71, 0x3fb8aa3b, v8
	v_mul_f32_e32 v74, 0x3fb8aa3b, v6
	v_fmac_f32_e32 v16, v83, v65
	v_cvt_i32_f32_e32 v65, v72
	v_pk_mul_f16 v83, v63, v84
	v_pk_mul_f16 v92, v62, v84
	v_fma_f32 v63, 0x3fb8aa3b, v8, -v71
	v_fma_f32 v78, 0x3fb8aa3b, v6, -v74
	v_ldexp_f32 v62, v70, v65
	v_rndne_f32_e32 v65, v71
	v_rndne_f32_e32 v79, v74
	v_fmac_f32_e32 v63, 0x32a5705f, v8
	v_fmac_f32_e32 v78, 0x32a5705f, v6
	v_cndmask_b32_e32 v62, 0, v62, vcc_lo
	v_sub_f32_e32 v70, v71, v65
	v_mul_f32_e32 v71, 0x3fb8aa3b, v5
	v_cmp_nlt_f32_e32 vcc_lo, 0x42b17218, v76
	v_sub_f32_e32 v74, v74, v79
	v_cvt_i32_f32_e32 v65, v65
	v_add_f32_e32 v63, v70, v63
	v_fma_f32 v70, 0x3fb8aa3b, v5, -v71
	v_rndne_f32_e32 v76, v71
	v_sub_f32_e32 v72, v82, v4
	v_cndmask_b32_e32 v62, 0x7f800000, v62, vcc_lo
	v_exp_f32_e32 v63, v63
	v_fmac_f32_e32 v70, 0x32a5705f, v5
	v_sub_f32_e32 v71, v71, v76
	v_cmp_ngt_f32_e32 vcc_lo, 0xc2ce8ed0, v8
	v_mul_f32_e32 v82, 0x3fb8aa3b, v72
	v_cvt_i32_f32_e32 v76, v76
	v_cvt_i32_f32_e32 v79, v79
	v_add_f32_e32 v70, v71, v70
	v_add_f32_e32 v71, v74, v78
	v_fma_f32 v74, 0x3fb8aa3b, v72, -v82
	v_ldexp_f32 v63, v63, v65
	v_rndne_f32_e32 v78, v82
	v_exp_f32_e32 v70, v70
	v_exp_f32_e32 v65, v71
	v_fmac_f32_e32 v74, 0x32a5705f, v72
	v_cndmask_b32_e32 v63, 0, v63, vcc_lo
	v_cmp_nlt_f32_e32 vcc_lo, 0x42b17218, v8
	v_sub_f32_e32 v71, v82, v78
	v_cvt_f16_f32_e32 v117, v62
	v_cvt_f16_f32_e32 v66, v66
	v_pk_mul_f16 v61, v61, v84
	v_cndmask_b32_e32 v8, 0x7f800000, v63, vcc_lo
	v_ldexp_f32 v70, v70, v76
	v_cmp_ngt_f32_e32 vcc_lo, 0xc2ce8ed0, v5
	v_ldexp_f32 v63, v65, v79
	v_add_f32_e32 v71, v71, v74
	v_add_f32_e32 v76, v62, v8
	v_cvt_f16_f32_e32 v8, v8
	v_cndmask_b32_e32 v70, 0, v70, vcc_lo
	v_cmp_ngt_f32_e32 vcc_lo, 0xc2ce8ed0, v6
	v_exp_f32_e32 v65, v71
	v_cvt_i32_f32_e32 v71, v78
	v_add_nc_u32_e32 v78, v41, v32
	v_pack_b32_f16 v8, v69, v8
	v_cndmask_b32_e32 v63, 0, v63, vcc_lo
	v_cmp_nlt_f32_e32 vcc_lo, 0x42b17218, v5
	v_pk_mul_f16 v60, v60, v84
	v_cndmask_b32_e32 v70, 0x7f800000, v70, vcc_lo
	v_cmp_nlt_f32_e32 vcc_lo, 0x42b17218, v6
	v_ldexp_f32 v5, v65, v71
	v_pack_b32_f16 v6, v68, v117
	v_cvt_f16_f32_e32 v62, v70
	v_cndmask_b32_e32 v74, 0x7f800000, v63, vcc_lo
	v_cmp_ngt_f32_e32 vcc_lo, 0xc2ce8ed0, v72
	v_pack_b32_f16 v63, v77, v62
	v_cvt_f16_f32_e32 v65, v74
	v_cndmask_b32_e32 v71, 0, v5, vcc_lo
	v_pack_b32_f16 v5, v114, v75
	v_cmp_nlt_f32_e32 vcc_lo, 0x42b17218, v72
	v_pack_b32_f16 v62, v90, v80
	v_pack_b32_f16 v66, v66, v65
	;; [unrolled: 1-line block ×3, first 2 shown]
	v_add_f32_e32 v73, v70, v76
	v_cndmask_b32_e32 v76, 0x7f800000, v71, vcc_lo
	ds_write2_b64 v78, v[5:6], v[7:8] offset1:32
	ds_write2_b64 v78, v[62:63], v[65:66] offset0:64 offset1:96
	s_waitcnt vmcnt(3)
	ds_write_b128 v42, v[97:100]
	s_waitcnt vmcnt(2)
	ds_write_b128 v43, v[101:104]
	;; [unrolled: 2-line block ×4, first 2 shown]
	s_waitcnt lgkmcnt(0)
	s_barrier
	buffer_gl0_inv
	v_add_nc_u32_e32 v62, 0x9000, v32
	ds_read_b128 v[68:71], v41
	v_cvt_f16_f32_e32 v5, v76
	v_add_f32_e32 v80, v74, v73
	v_pk_mul_f16 v65, v56, v84
	ds_read2_b64 v[72:75], v62 offset1:32
	v_pk_mul_f16 v66, v57, v84
	v_mul_u32_u24_sdwa v5, v5, v47 dst_sel:DWORD dst_unused:UNUSED_PAD src0_sel:WORD_0 src1_sel:DWORD
	v_fmac_f32_e32 v80, v81, v76
	v_pk_mul_f16 v63, v59, v84
	v_pk_mul_f16 v56, v53, v5
	;; [unrolled: 1-line block ×5, first 2 shown]
	ds_read2_b64 v[52:55], v62 offset0:64 offset1:96
	v_pk_mul_f16 v59, v50, v5
	v_pk_mul_f16 v82, v51, v5
	;; [unrolled: 1-line block ×4, first 2 shown]
	ds_read_b128 v[48:51], v41 offset:16
	s_waitcnt lgkmcnt(3)
	v_mul_u32_u24_sdwa v99, v68, v47 dst_sel:DWORD dst_unused:UNUSED_PAD src0_sel:WORD_0 src1_sel:DWORD
	v_mul_u32_u24_sdwa v68, v68, v47 dst_sel:DWORD dst_unused:UNUSED_PAD src0_sel:WORD_1 src1_sel:DWORD
	v_mul_u32_u24_sdwa v100, v69, v47 dst_sel:DWORD dst_unused:UNUSED_PAD src0_sel:WORD_0 src1_sel:DWORD
	v_mul_u32_u24_sdwa v69, v69, v47 dst_sel:DWORD dst_unused:UNUSED_PAD src0_sel:WORD_1 src1_sel:DWORD
	ds_read_b128 v[76:79], v41 offset:32
	ds_read_b128 v[5:8], v41 offset:48
	s_waitcnt lgkmcnt(4)
	v_pk_mul_f16 v101, v72, v99
	v_pk_mul_f16 v102, v72, v68
	;; [unrolled: 1-line block ×3, first 2 shown]
	v_pk_fma_f16 v72, v72, v69, v56
	v_pk_fma_f16 v88, v73, v99, v88
	;; [unrolled: 1-line block ×12, first 2 shown]
	ds_read2_b64 v[56:59], v62 offset0:128 offset1:160
	v_pk_fma_f16 v96, v75, v68, v96
	s_waitcnt lgkmcnt(4)
	v_pk_fma_f16 v93, v52, v68, v93
	v_pk_fma_f16 v102, v52, v100, v63
	v_pk_fma_f16 v104, v53, v68, v116
	v_pk_fma_f16 v87, v54, v68, v87
	v_pk_fma_f16 v106, v54, v100, v65
	v_pk_fma_f16 v68, v55, v68, v94
	v_pk_fma_f16 v94, v55, v100, v66
	ds_read2_b64 v[63:66], v62 offset0:192 offset1:224
	v_pk_fma_f16 v101, v75, v99, v120
	v_pk_fma_f16 v61, v75, v100, v61
	;; [unrolled: 1-line block ×6, first 2 shown]
	v_mul_u32_u24_sdwa v100, v70, v47 dst_sel:DWORD dst_unused:UNUSED_PAD src0_sel:WORD_0 src1_sel:DWORD
	v_mul_u32_u24_sdwa v70, v70, v47 dst_sel:DWORD dst_unused:UNUSED_PAD src0_sel:WORD_1 src1_sel:DWORD
	v_mul_u32_u24_sdwa v107, v71, v47 dst_sel:DWORD dst_unused:UNUSED_PAD src0_sel:WORD_0 src1_sel:DWORD
	v_mul_u32_u24_sdwa v71, v71, v47 dst_sel:DWORD dst_unused:UNUSED_PAD src0_sel:WORD_1 src1_sel:DWORD
	v_add_nc_u32_e32 v52, 0x9800, v32
	v_pk_fma_f16 v103, v53, v99, v122
	v_pk_fma_f16 v90, v53, v69, v90
	v_pk_fma_f16 v105, v54, v99, v124
	v_pk_fma_f16 v97, v54, v69, v97
	v_pk_fma_f16 v99, v55, v99, v128
	v_pk_fma_f16 v69, v55, v69, v98
	s_waitcnt lgkmcnt(1)
	v_pk_fma_f16 v67, v56, v100, v67
	v_pk_fma_f16 v91, v56, v70, v91
	;; [unrolled: 1-line block ×4, first 2 shown]
	ds_read2_b64 v[53:56], v52 offset1:32
	v_pk_fma_f16 v88, v57, v100, v88
	v_pk_fma_f16 v85, v57, v70, v85
	;; [unrolled: 1-line block ×12, first 2 shown]
	s_waitcnt lgkmcnt(1)
	v_pk_fma_f16 v81, v63, v100, v81
	v_pk_fma_f16 v93, v63, v70, v93
	;; [unrolled: 1-line block ×6, first 2 shown]
	ds_read2_b64 v[57:60], v52 offset0:64 offset1:96
	v_pk_fma_f16 v102, v64, v70, v104
	v_pk_fma_f16 v64, v64, v71, v90
	v_pk_fma_f16 v90, v65, v100, v105
	v_pk_fma_f16 v87, v65, v70, v87
	v_pk_fma_f16 v104, v65, v107, v106
	v_pk_fma_f16 v65, v65, v71, v97
	v_pk_fma_f16 v97, v66, v100, v99
	v_pk_fma_f16 v68, v66, v70, v68
	v_pk_fma_f16 v70, v66, v107, v94
	v_mul_u32_u24_sdwa v94, v48, v47 dst_sel:DWORD dst_unused:UNUSED_PAD src0_sel:WORD_0 src1_sel:DWORD
	v_mul_u32_u24_sdwa v48, v48, v47 dst_sel:DWORD dst_unused:UNUSED_PAD src0_sel:WORD_1 src1_sel:DWORD
	v_mul_u32_u24_sdwa v99, v49, v47 dst_sel:DWORD dst_unused:UNUSED_PAD src0_sel:WORD_0 src1_sel:DWORD
	v_mul_u32_u24_sdwa v49, v49, v47 dst_sel:DWORD dst_unused:UNUSED_PAD src0_sel:WORD_1 src1_sel:DWORD
	v_pk_fma_f16 v69, v66, v71, v69
	s_waitcnt lgkmcnt(1)
	v_pk_fma_f16 v67, v53, v94, v67
	v_pk_fma_f16 v71, v53, v48, v91
	;; [unrolled: 1-line block ×16, first 2 shown]
	ds_read2_b64 v[53:56], v52 offset0:128 offset1:160
	s_waitcnt lgkmcnt(1)
	v_pk_fma_f16 v81, v57, v94, v81
	v_pk_fma_f16 v93, v57, v48, v93
	;; [unrolled: 1-line block ×12, first 2 shown]
	ds_read2_b64 v[63:66], v52 offset0:192 offset1:224
	v_pk_fma_f16 v94, v60, v94, v97
	v_pk_fma_f16 v70, v60, v99, v70
	v_mul_u32_u24_sdwa v97, v50, v47 dst_sel:DWORD dst_unused:UNUSED_PAD src0_sel:WORD_0 src1_sel:DWORD
	v_mul_u32_u24_sdwa v99, v50, v47 dst_sel:DWORD dst_unused:UNUSED_PAD src0_sel:WORD_1 src1_sel:DWORD
	v_mul_u32_u24_sdwa v103, v51, v47 dst_sel:DWORD dst_unused:UNUSED_PAD src0_sel:WORD_0 src1_sel:DWORD
	v_mul_u32_u24_sdwa v104, v51, v47 dst_sel:DWORD dst_unused:UNUSED_PAD src0_sel:WORD_1 src1_sel:DWORD
	v_pk_fma_f16 v68, v60, v48, v68
	v_pk_fma_f16 v60, v60, v49, v69
	s_waitcnt lgkmcnt(1)
	v_pk_fma_f16 v67, v53, v97, v67
	v_pk_fma_f16 v69, v53, v99, v71
	;; [unrolled: 1-line block ×4, first 2 shown]
	v_add_nc_u32_e32 v53, 0xa000, v32
	v_pk_fma_f16 v84, v54, v97, v88
	v_pk_fma_f16 v85, v54, v99, v85
	;; [unrolled: 1-line block ×12, first 2 shown]
	s_waitcnt lgkmcnt(0)
	v_pk_fma_f16 v81, v63, v97, v81
	v_pk_fma_f16 v93, v63, v99, v93
	ds_read2_b64 v[48:51], v53 offset1:32
	v_pk_fma_f16 v96, v63, v103, v98
	v_pk_fma_f16 v63, v63, v104, v57
	ds_read2_b64 v[54:57], v53 offset0:64 offset1:96
	v_pk_fma_f16 v82, v64, v97, v82
	v_pk_fma_f16 v98, v64, v99, v100
	;; [unrolled: 1-line block ×9, first 2 shown]
	v_mul_u32_u24_sdwa v94, v76, v47 dst_sel:DWORD dst_unused:UNUSED_PAD src0_sel:WORD_0 src1_sel:DWORD
	v_mul_u32_u24_sdwa v76, v76, v47 dst_sel:DWORD dst_unused:UNUSED_PAD src0_sel:WORD_1 src1_sel:DWORD
	v_mul_u32_u24_sdwa v97, v77, v47 dst_sel:DWORD dst_unused:UNUSED_PAD src0_sel:WORD_0 src1_sel:DWORD
	v_mul_u32_u24_sdwa v77, v77, v47 dst_sel:DWORD dst_unused:UNUSED_PAD src0_sel:WORD_1 src1_sel:DWORD
	v_pk_fma_f16 v68, v66, v99, v68
	v_pk_fma_f16 v70, v66, v103, v70
	;; [unrolled: 1-line block ×3, first 2 shown]
	s_waitcnt lgkmcnt(1)
	v_pk_fma_f16 v99, v51, v97, v61
	v_pk_fma_f16 v67, v48, v94, v67
	;; [unrolled: 1-line block ×3, first 2 shown]
	s_waitcnt lgkmcnt(0)
	v_pk_fma_f16 v82, v55, v94, v82
	v_pk_fma_f16 v98, v55, v76, v98
	;; [unrolled: 1-line block ×8, first 2 shown]
	ds_read2_b64 v[58:61], v53 offset0:192 offset1:224
	v_pk_fma_f16 v71, v48, v97, v71
	v_pk_fma_f16 v72, v48, v77, v72
	;; [unrolled: 1-line block ×13, first 2 shown]
	ds_read2_b64 v[48:51], v53 offset0:128 offset1:160
	v_pk_fma_f16 v81, v54, v94, v81
	v_pk_fma_f16 v93, v54, v76, v93
	;; [unrolled: 1-line block ×6, first 2 shown]
	v_mul_u32_u24_sdwa v76, v78, v47 dst_sel:DWORD dst_unused:UNUSED_PAD src0_sel:WORD_0 src1_sel:DWORD
	v_mul_u32_u24_sdwa v78, v78, v47 dst_sel:DWORD dst_unused:UNUSED_PAD src0_sel:WORD_1 src1_sel:DWORD
	v_mul_u32_u24_sdwa v94, v79, v47 dst_sel:DWORD dst_unused:UNUSED_PAD src0_sel:WORD_0 src1_sel:DWORD
	v_mul_u32_u24_sdwa v79, v79, v47 dst_sel:DWORD dst_unused:UNUSED_PAD src0_sel:WORD_1 src1_sel:DWORD
	v_add_nc_u32_e32 v54, 0xa800, v32
	v_pk_fma_f16 v70, v57, v97, v70
	v_pk_fma_f16 v66, v57, v77, v66
	s_waitcnt lgkmcnt(1)
	v_pk_fma_f16 v81, v58, v76, v81
	v_pk_fma_f16 v93, v58, v78, v93
	;; [unrolled: 1-line block ×12, first 2 shown]
	ds_read2_b64 v[55:58], v54 offset0:64 offset1:96
	s_waitcnt lgkmcnt(1)
	v_pk_fma_f16 v67, v48, v76, v67
	v_pk_fma_f16 v69, v48, v78, v69
	;; [unrolled: 1-line block ×16, first 2 shown]
	ds_read2_b64 v[48:51], v54 offset1:32
	v_mul_u32_u24_sdwa v176, v5, v47 dst_sel:DWORD dst_unused:UNUSED_PAD src0_sel:WORD_0 src1_sel:DWORD
	v_mul_u32_u24_sdwa v177, v5, v47 dst_sel:DWORD dst_unused:UNUSED_PAD src0_sel:WORD_1 src1_sel:DWORD
	v_mul_u32_u24_sdwa v178, v6, v47 dst_sel:DWORD dst_unused:UNUSED_PAD src0_sel:WORD_0 src1_sel:DWORD
	v_mul_u32_u24_sdwa v179, v6, v47 dst_sel:DWORD dst_unused:UNUSED_PAD src0_sel:WORD_1 src1_sel:DWORD
	v_add_co_u32 v5, vcc_lo, s0, v27
	s_waitcnt lgkmcnt(1)
	v_pk_fma_f16 v195, v55, v176, v81
	v_pk_fma_f16 v196, v55, v177, v93
	;; [unrolled: 1-line block ×4, first 2 shown]
	v_add_co_ci_u32_e64 v6, null, s19, v28, vcc_lo
	v_add_co_u32 v55, vcc_lo, s0, v29
	v_pk_fma_f16 v199, v56, v176, v82
	v_pk_fma_f16 v200, v56, v177, v97
	;; [unrolled: 1-line block ×4, first 2 shown]
	v_add_co_ci_u32_e64 v56, null, s19, v30, vcc_lo
	v_add_co_u32 v5, vcc_lo, v5, v89
	v_pk_fma_f16 v173, v61, v76, v65
	v_pk_fma_f16 v174, v61, v78, v68
	v_pk_fma_f16 v175, v61, v94, v70
	v_pk_fma_f16 v61, v61, v79, v66
	s_waitcnt lgkmcnt(0)
	v_pk_fma_f16 v79, v48, v176, v67
	v_pk_fma_f16 v180, v48, v177, v69
	;; [unrolled: 1-line block ×12, first 2 shown]
	v_add_nc_u32_e32 v51, 0xb000, v32
	v_add_nc_u32_e32 v49, 0xc000, v32
	;; [unrolled: 1-line block ×3, first 2 shown]
	v_add_co_ci_u32_e64 v6, null, 0, v6, vcc_lo
	v_add_co_u32 v55, vcc_lo, v55, v89
	v_pk_fma_f16 v187, v50, v176, v85
	v_pk_fma_f16 v188, v50, v177, v86
	;; [unrolled: 1-line block ×4, first 2 shown]
	v_add_nc_u32_e32 v50, 0xb800, v32
	v_add_co_ci_u32_e64 v56, null, 0, v56, vcc_lo
	ds_read2_b64 v[63:66], v54 offset0:128 offset1:160
	ds_read2_b64 v[67:70], v54 offset0:192 offset1:224
	ds_read2_b64 v[71:74], v51 offset1:32
	ds_read2_b64 v[75:78], v51 offset0:64 offset1:96
	ds_read2_b64 v[81:84], v51 offset0:128 offset1:160
	;; [unrolled: 1-line block ×3, first 2 shown]
	ds_read2_b64 v[90:93], v50 offset1:32
	ds_read2_b64 v[94:97], v50 offset0:64 offset1:96
	ds_read_b128 v[98:101], v41 offset:64
	ds_read_b128 v[102:105], v41 offset:80
	ds_read2_b64 v[106:109], v50 offset0:128 offset1:160
	ds_read2_b64 v[110:113], v50 offset0:192 offset1:224
	ds_read2_b64 v[114:117], v49 offset1:32
	ds_read2_b64 v[118:121], v49 offset0:64 offset1:96
	ds_read2_b64 v[122:125], v49 offset0:128 offset1:160
	;; [unrolled: 1-line block ×3, first 2 shown]
	ds_read2_b64 v[130:133], v48 offset1:32
	ds_read2_b64 v[134:137], v48 offset0:64 offset1:96
	ds_read_b128 v[138:141], v41 offset:96
	ds_read_b128 v[142:145], v41 offset:112
	ds_read2_b64 v[146:149], v48 offset0:128 offset1:160
	ds_read2_b64 v[150:153], v48 offset0:192 offset1:224
	s_waitcnt lgkmcnt(0)
	s_barrier
	buffer_gl0_inv
	s_clause 0x3
	global_load_dwordx4 v[154:157], v[5:6], off
	global_load_dwordx4 v[158:161], v[5:6], off offset:512
	global_load_dwordx4 v[162:165], v[55:56], off
	global_load_dwordx4 v[166:169], v[55:56], off offset:512
	v_pk_fma_f16 v5, v57, v176, v170
	v_pk_fma_f16 v6, v57, v177, v171
	v_pk_fma_f16 v55, v57, v178, v172
	v_pk_fma_f16 v56, v57, v179, v60
	v_pk_fma_f16 v57, v58, v176, v173
	v_pk_fma_f16 v60, v58, v177, v174
	v_pk_fma_f16 v170, v58, v178, v175
	v_mul_u32_u24_sdwa v171, v7, v47 dst_sel:DWORD dst_unused:UNUSED_PAD src0_sel:WORD_0 src1_sel:DWORD
	v_mul_u32_u24_sdwa v7, v7, v47 dst_sel:DWORD dst_unused:UNUSED_PAD src0_sel:WORD_1 src1_sel:DWORD
	v_mul_u32_u24_sdwa v172, v8, v47 dst_sel:DWORD dst_unused:UNUSED_PAD src0_sel:WORD_0 src1_sel:DWORD
	v_mul_u32_u24_sdwa v8, v8, v47 dst_sel:DWORD dst_unused:UNUSED_PAD src0_sel:WORD_1 src1_sel:DWORD
	v_pk_fma_f16 v58, v58, v179, v61
	v_pk_fma_f16 v61, v63, v171, v79
	v_pk_fma_f16 v79, v63, v7, v180
	v_pk_fma_f16 v173, v63, v172, v181
	v_pk_fma_f16 v63, v63, v8, v182
	v_pk_fma_f16 v174, v64, v171, v183
	v_pk_fma_f16 v175, v64, v7, v184
	v_pk_fma_f16 v176, v64, v172, v185
	v_pk_fma_f16 v64, v64, v8, v186
	v_pk_fma_f16 v177, v65, v171, v187
	v_pk_fma_f16 v178, v65, v7, v188
	v_pk_fma_f16 v179, v65, v172, v189
	v_pk_fma_f16 v65, v65, v8, v190
	v_pk_fma_f16 v180, v66, v171, v191
	v_pk_fma_f16 v181, v66, v7, v192
	v_pk_fma_f16 v182, v66, v172, v193
	v_pk_fma_f16 v66, v66, v8, v194
	v_pk_fma_f16 v183, v67, v171, v195
	v_pk_fma_f16 v184, v67, v7, v196
	v_pk_fma_f16 v185, v67, v172, v197
	v_pk_fma_f16 v67, v67, v8, v198
	v_pk_fma_f16 v186, v68, v171, v199
	v_pk_fma_f16 v187, v68, v7, v200
	v_pk_fma_f16 v188, v68, v172, v201
	v_pk_fma_f16 v59, v68, v8, v59
	v_pk_fma_f16 v5, v69, v171, v5
	v_pk_fma_f16 v6, v69, v7, v6
	v_pk_fma_f16 v55, v69, v172, v55
	v_pk_fma_f16 v56, v69, v8, v56
	v_pk_fma_f16 v57, v70, v171, v57
	v_pk_fma_f16 v7, v70, v7, v60
	v_pk_fma_f16 v60, v70, v172, v170
	v_mul_u32_u24_sdwa v68, v98, v47 dst_sel:DWORD dst_unused:UNUSED_PAD src0_sel:WORD_0 src1_sel:DWORD
	v_mul_u32_u24_sdwa v69, v98, v47 dst_sel:DWORD dst_unused:UNUSED_PAD src0_sel:WORD_1 src1_sel:DWORD
	v_mul_u32_u24_sdwa v98, v99, v47 dst_sel:DWORD dst_unused:UNUSED_PAD src0_sel:WORD_0 src1_sel:DWORD
	v_mul_u32_u24_sdwa v99, v99, v47 dst_sel:DWORD dst_unused:UNUSED_PAD src0_sel:WORD_1 src1_sel:DWORD
	v_pk_fma_f16 v8, v70, v8, v58
	v_pk_fma_f16 v58, v71, v68, v61
	v_pk_fma_f16 v61, v71, v69, v79
	v_pk_fma_f16 v70, v71, v98, v173
	v_pk_fma_f16 v63, v71, v99, v63
	v_pk_fma_f16 v71, v72, v68, v174
	v_pk_fma_f16 v79, v72, v69, v175
	v_pk_fma_f16 v170, v72, v98, v176
	v_pk_fma_f16 v64, v72, v99, v64
	v_pk_fma_f16 v72, v73, v68, v177
	v_pk_fma_f16 v171, v73, v69, v178
	v_pk_fma_f16 v172, v73, v98, v179
	v_pk_fma_f16 v65, v73, v99, v65
	v_pk_fma_f16 v73, v74, v68, v180
	v_pk_fma_f16 v173, v74, v69, v181
	v_pk_fma_f16 v174, v74, v98, v182
	v_pk_fma_f16 v66, v74, v99, v66
	v_pk_fma_f16 v74, v75, v68, v183
	v_pk_fma_f16 v175, v75, v69, v184
	v_pk_fma_f16 v176, v75, v98, v185
	v_pk_fma_f16 v67, v75, v99, v67
	v_pk_fma_f16 v75, v76, v68, v186
	v_pk_fma_f16 v177, v76, v69, v187
	v_pk_fma_f16 v178, v76, v98, v188
	v_pk_fma_f16 v59, v76, v99, v59
	;; [unrolled: 36-line block ×3, first 2 shown]
	v_pk_fma_f16 v6, v87, v69, v6
	v_pk_fma_f16 v55, v87, v76, v55
	;; [unrolled: 1-line block ×5, first 2 shown]
	v_mul_u32_u24_sdwa v68, v102, v47 dst_sel:DWORD dst_unused:UNUSED_PAD src0_sel:WORD_0 src1_sel:DWORD
	v_mul_u32_u24_sdwa v69, v102, v47 dst_sel:DWORD dst_unused:UNUSED_PAD src0_sel:WORD_1 src1_sel:DWORD
	v_mul_u32_u24_sdwa v76, v103, v47 dst_sel:DWORD dst_unused:UNUSED_PAD src0_sel:WORD_0 src1_sel:DWORD
	v_pk_fma_f16 v59, v86, v77, v59
	v_pk_fma_f16 v56, v87, v77, v56
	v_mul_u32_u24_sdwa v86, v103, v47 dst_sel:DWORD dst_unused:UNUSED_PAD src0_sel:WORD_1 src1_sel:DWORD
	v_pk_fma_f16 v8, v88, v77, v8
	v_pk_fma_f16 v58, v90, v68, v58
	;; [unrolled: 1-line block ×19, first 2 shown]
	v_mul_u32_u24_sdwa v68, v104, v47 dst_sel:DWORD dst_unused:UNUSED_PAD src0_sel:WORD_0 src1_sel:DWORD
	v_mul_u32_u24_sdwa v69, v104, v47 dst_sel:DWORD dst_unused:UNUSED_PAD src0_sel:WORD_1 src1_sel:DWORD
	v_pk_fma_f16 v70, v90, v76, v70
	v_pk_fma_f16 v63, v90, v86, v63
	v_pk_fma_f16 v64, v91, v86, v64
	v_pk_fma_f16 v65, v92, v86, v65
	v_pk_fma_f16 v83, v93, v76, v98
	v_pk_fma_f16 v66, v93, v86, v66
	v_pk_fma_f16 v87, v94, v76, v99
	v_pk_fma_f16 v67, v94, v86, v67
	v_pk_fma_f16 v88, v95, v76, v100
	v_pk_fma_f16 v59, v95, v86, v59
	v_pk_fma_f16 v55, v96, v76, v55
	v_pk_fma_f16 v56, v96, v86, v56
	v_pk_fma_f16 v60, v97, v76, v60
	v_mul_u32_u24_sdwa v76, v105, v47 dst_sel:DWORD dst_unused:UNUSED_PAD src0_sel:WORD_0 src1_sel:DWORD
	v_mul_u32_u24_sdwa v90, v105, v47 dst_sel:DWORD dst_unused:UNUSED_PAD src0_sel:WORD_1 src1_sel:DWORD
	v_pk_fma_f16 v8, v97, v86, v8
	v_pk_fma_f16 v58, v106, v68, v58
	v_pk_fma_f16 v61, v106, v69, v61
	v_pk_fma_f16 v71, v107, v68, v71
	v_pk_fma_f16 v77, v107, v69, v77
	v_pk_fma_f16 v72, v108, v68, v72
	v_pk_fma_f16 v79, v108, v69, v79
	v_pk_fma_f16 v73, v109, v68, v73
	v_pk_fma_f16 v82, v109, v69, v82
	v_pk_fma_f16 v74, v110, v68, v74
	v_pk_fma_f16 v84, v110, v69, v84
	v_pk_fma_f16 v75, v111, v68, v75
	v_pk_fma_f16 v85, v111, v69, v85
	v_pk_fma_f16 v5, v112, v68, v5
	v_pk_fma_f16 v6, v112, v69, v6
	v_pk_fma_f16 v57, v113, v68, v57
	v_pk_fma_f16 v7, v113, v69, v7
	v_mul_u32_u24_sdwa v68, v138, v47 dst_sel:DWORD dst_unused:UNUSED_PAD src0_sel:WORD_0 src1_sel:DWORD
	v_mul_u32_u24_sdwa v69, v138, v47 dst_sel:DWORD dst_unused:UNUSED_PAD src0_sel:WORD_1 src1_sel:DWORD
	v_pk_fma_f16 v70, v106, v76, v70
	v_pk_fma_f16 v63, v106, v90, v63
	v_pk_fma_f16 v78, v107, v76, v78
	v_pk_fma_f16 v64, v107, v90, v64
	v_pk_fma_f16 v81, v108, v76, v81
	v_pk_fma_f16 v65, v108, v90, v65
	v_pk_fma_f16 v83, v109, v76, v83
	v_pk_fma_f16 v66, v109, v90, v66
	v_pk_fma_f16 v86, v110, v76, v87
	v_pk_fma_f16 v67, v110, v90, v67
	v_pk_fma_f16 v87, v111, v76, v88
	v_pk_fma_f16 v59, v111, v90, v59
	v_pk_fma_f16 v55, v112, v76, v55
	v_pk_fma_f16 v56, v112, v90, v56
	v_pk_fma_f16 v60, v113, v76, v60
	v_mul_u32_u24_sdwa v76, v139, v47 dst_sel:DWORD dst_unused:UNUSED_PAD src0_sel:WORD_0 src1_sel:DWORD
	v_mul_u32_u24_sdwa v88, v139, v47 dst_sel:DWORD dst_unused:UNUSED_PAD src0_sel:WORD_1 src1_sel:DWORD
	v_pk_fma_f16 v8, v113, v90, v8
	v_pk_fma_f16 v58, v114, v68, v58
	v_pk_fma_f16 v61, v114, v69, v61
	v_pk_fma_f16 v71, v115, v68, v71
	v_pk_fma_f16 v77, v115, v69, v77
	v_pk_fma_f16 v72, v116, v68, v72
	v_pk_fma_f16 v79, v116, v69, v79
	v_pk_fma_f16 v73, v117, v68, v73
	v_pk_fma_f16 v82, v117, v69, v82
	v_pk_fma_f16 v74, v118, v68, v74
	v_pk_fma_f16 v84, v118, v69, v84
	v_pk_fma_f16 v75, v119, v68, v75
	v_pk_fma_f16 v85, v119, v69, v85
	v_pk_fma_f16 v5, v120, v68, v5
	v_pk_fma_f16 v6, v120, v69, v6
	v_pk_fma_f16 v57, v121, v68, v57
	v_pk_fma_f16 v7, v121, v69, v7
	v_mul_u32_u24_sdwa v68, v140, v47 dst_sel:DWORD dst_unused:UNUSED_PAD src0_sel:WORD_0 src1_sel:DWORD
	v_mul_u32_u24_sdwa v69, v140, v47 dst_sel:DWORD dst_unused:UNUSED_PAD src0_sel:WORD_1 src1_sel:DWORD
	v_pk_fma_f16 v70, v114, v76, v70
	v_pk_fma_f16 v63, v114, v88, v63
	;; [unrolled: 36-line block ×3, first 2 shown]
	v_pk_fma_f16 v78, v123, v76, v78
	v_pk_fma_f16 v64, v123, v90, v64
	;; [unrolled: 1-line block ×13, first 2 shown]
	v_mul_u32_u24_sdwa v76, v143, v47 dst_sel:DWORD dst_unused:UNUSED_PAD src0_sel:WORD_0 src1_sel:DWORD
	v_mul_u32_u24_sdwa v88, v143, v47 dst_sel:DWORD dst_unused:UNUSED_PAD src0_sel:WORD_1 src1_sel:DWORD
	v_pk_fma_f16 v8, v129, v90, v8
	v_pk_fma_f16 v58, v130, v68, v58
	;; [unrolled: 1-line block ×10, first 2 shown]
	v_mul_u32_u24_sdwa v69, v144, v47 dst_sel:DWORD dst_unused:UNUSED_PAD src0_sel:WORD_0 src1_sel:DWORD
	v_pk_fma_f16 v63, v130, v88, v63
	v_pk_fma_f16 v71, v131, v68, v71
	;; [unrolled: 1-line block ×15, first 2 shown]
	v_mul_u32_u24_sdwa v93, v145, v47 dst_sel:DWORD dst_unused:UNUSED_PAD src0_sel:WORD_1 src1_sel:DWORD
	v_pk_fma_f16 v8, v137, v88, v8
	v_pk_fma_f16 v88, v146, v69, v58
	s_waitcnt vmcnt(3)
	ds_write_b128 v42, v[154:157]
	s_waitcnt vmcnt(2)
	ds_write_b128 v43, v[158:161]
	s_waitcnt vmcnt(1)
	ds_write_b128 v44, v[162:165]
	s_waitcnt vmcnt(0)
	ds_write_b128 v45, v[166:169]
	s_waitcnt lgkmcnt(0)
	s_barrier
	buffer_gl0_inv
	ds_read_b128 v[55:58], v41 offset:128
	v_pk_fma_f16 v95, v146, v93, v63
	v_pk_fma_f16 v99, v147, v93, v64
	;; [unrolled: 1-line block ×4, first 2 shown]
	ds_read2_b64 v[63:66], v62 offset1:32
	v_pk_fma_f16 v70, v130, v76, v70
	v_pk_fma_f16 v78, v131, v76, v78
	;; [unrolled: 1-line block ×7, first 2 shown]
	v_mul_u32_u24_sdwa v76, v144, v47 dst_sel:DWORD dst_unused:UNUSED_PAD src0_sel:WORD_1 src1_sel:DWORD
	v_mul_u32_u24_sdwa v92, v145, v47 dst_sel:DWORD dst_unused:UNUSED_PAD src0_sel:WORD_0 src1_sel:DWORD
	v_pk_fma_f16 v96, v147, v69, v71
	v_pk_fma_f16 v100, v148, v69, v72
	;; [unrolled: 1-line block ×19, first 2 shown]
	s_waitcnt lgkmcnt(1)
	v_mul_u32_u24_sdwa v93, v55, v47 dst_sel:DWORD dst_unused:UNUSED_PAD src0_sel:WORD_0 src1_sel:DWORD
	v_mul_u32_u24_sdwa v55, v55, v47 dst_sel:DWORD dst_unused:UNUSED_PAD src0_sel:WORD_1 src1_sel:DWORD
	v_mul_u32_u24_sdwa v111, v56, v47 dst_sel:DWORD dst_unused:UNUSED_PAD src0_sel:WORD_0 src1_sel:DWORD
	v_mul_u32_u24_sdwa v56, v56, v47 dst_sel:DWORD dst_unused:UNUSED_PAD src0_sel:WORD_1 src1_sel:DWORD
	v_pk_fma_f16 v104, v150, v69, v74
	v_pk_fma_f16 v106, v151, v69, v75
	;; [unrolled: 1-line block ×4, first 2 shown]
	ds_read2_b64 v[67:70], v62 offset0:64 offset1:96
	ds_read_b128 v[71:74], v41 offset:144
	v_pk_fma_f16 v84, v150, v76, v84
	v_pk_fma_f16 v85, v151, v76, v85
	;; [unrolled: 1-line block ×4, first 2 shown]
	ds_read_b128 v[75:78], v41 offset:160
	ds_read_b128 v[5:8], v41 offset:176
	s_waitcnt lgkmcnt(4)
	v_pk_fma_f16 v88, v63, v93, v88
	v_pk_fma_f16 v61, v63, v55, v61
	;; [unrolled: 1-line block ×16, first 2 shown]
	ds_read2_b64 v[63:66], v62 offset0:128 offset1:160
	s_waitcnt lgkmcnt(4)
	v_pk_fma_f16 v104, v67, v93, v104
	v_pk_fma_f16 v115, v67, v55, v84
	;; [unrolled: 1-line block ×14, first 2 shown]
	ds_read2_b64 v[81:84], v62 offset0:192 offset1:224
	v_mul_u32_u24_sdwa v107, v57, v47 dst_sel:DWORD dst_unused:UNUSED_PAD src0_sel:WORD_0 src1_sel:DWORD
	v_mul_u32_u24_sdwa v108, v57, v47 dst_sel:DWORD dst_unused:UNUSED_PAD src0_sel:WORD_1 src1_sel:DWORD
	v_mul_u32_u24_sdwa v109, v58, v47 dst_sel:DWORD dst_unused:UNUSED_PAD src0_sel:WORD_0 src1_sel:DWORD
	v_mul_u32_u24_sdwa v110, v58, v47 dst_sel:DWORD dst_unused:UNUSED_PAD src0_sel:WORD_1 src1_sel:DWORD
	v_pk_fma_f16 v60, v70, v111, v60
	v_pk_fma_f16 v70, v70, v56, v92
	s_waitcnt lgkmcnt(1)
	v_pk_fma_f16 v88, v63, v107, v88
	v_pk_fma_f16 v61, v63, v108, v61
	;; [unrolled: 1-line block ×16, first 2 shown]
	ds_read2_b64 v[55:58], v52 offset1:32
	ds_read2_b64 v[63:66], v52 offset0:64 offset1:96
	s_waitcnt lgkmcnt(2)
	v_pk_fma_f16 v104, v81, v107, v104
	v_pk_fma_f16 v113, v81, v108, v115
	;; [unrolled: 1-line block ×14, first 2 shown]
	v_mul_u32_u24_sdwa v93, v71, v47 dst_sel:DWORD dst_unused:UNUSED_PAD src0_sel:WORD_0 src1_sel:DWORD
	v_mul_u32_u24_sdwa v71, v71, v47 dst_sel:DWORD dst_unused:UNUSED_PAD src0_sel:WORD_1 src1_sel:DWORD
	v_mul_u32_u24_sdwa v105, v72, v47 dst_sel:DWORD dst_unused:UNUSED_PAD src0_sel:WORD_0 src1_sel:DWORD
	v_mul_u32_u24_sdwa v72, v72, v47 dst_sel:DWORD dst_unused:UNUSED_PAD src0_sel:WORD_1 src1_sel:DWORD
	v_pk_fma_f16 v60, v84, v109, v60
	v_pk_fma_f16 v84, v84, v110, v70
	s_waitcnt lgkmcnt(1)
	v_pk_fma_f16 v88, v55, v93, v88
	v_pk_fma_f16 v61, v55, v71, v61
	;; [unrolled: 1-line block ×16, first 2 shown]
	s_waitcnt lgkmcnt(0)
	v_pk_fma_f16 v104, v63, v93, v104
	v_pk_fma_f16 v108, v63, v71, v113
	ds_read2_b64 v[55:58], v52 offset0:128 offset1:160
	v_pk_fma_f16 v86, v63, v105, v86
	v_pk_fma_f16 v63, v63, v72, v67
	;; [unrolled: 1-line block ×10, first 2 shown]
	ds_read2_b64 v[67:70], v52 offset0:192 offset1:224
	v_pk_fma_f16 v83, v66, v93, v83
	v_pk_fma_f16 v71, v66, v71, v91
	v_mul_u32_u24_sdwa v91, v73, v47 dst_sel:DWORD dst_unused:UNUSED_PAD src0_sel:WORD_0 src1_sel:DWORD
	v_mul_u32_u24_sdwa v73, v73, v47 dst_sel:DWORD dst_unused:UNUSED_PAD src0_sel:WORD_1 src1_sel:DWORD
	v_mul_u32_u24_sdwa v93, v74, v47 dst_sel:DWORD dst_unused:UNUSED_PAD src0_sel:WORD_0 src1_sel:DWORD
	v_mul_u32_u24_sdwa v74, v74, v47 dst_sel:DWORD dst_unused:UNUSED_PAD src0_sel:WORD_1 src1_sel:DWORD
	v_pk_fma_f16 v60, v66, v105, v60
	v_pk_fma_f16 v72, v66, v72, v84
	s_waitcnt lgkmcnt(1)
	v_pk_fma_f16 v84, v55, v91, v88
	v_pk_fma_f16 v61, v55, v73, v61
	;; [unrolled: 1-line block ×16, first 2 shown]
	s_waitcnt lgkmcnt(0)
	v_pk_fma_f16 v104, v67, v91, v104
	v_pk_fma_f16 v106, v67, v73, v108
	ds_read2_b64 v[55:58], v53 offset1:32
	v_pk_fma_f16 v86, v67, v93, v86
	v_pk_fma_f16 v67, v67, v74, v63
	;; [unrolled: 1-line block ×10, first 2 shown]
	ds_read2_b64 v[63:66], v53 offset0:64 offset1:96
	v_pk_fma_f16 v83, v70, v91, v83
	v_pk_fma_f16 v71, v70, v73, v71
	v_mul_u32_u24_sdwa v73, v75, v47 dst_sel:DWORD dst_unused:UNUSED_PAD src0_sel:WORD_0 src1_sel:DWORD
	v_mul_u32_u24_sdwa v75, v75, v47 dst_sel:DWORD dst_unused:UNUSED_PAD src0_sel:WORD_1 src1_sel:DWORD
	v_mul_u32_u24_sdwa v91, v76, v47 dst_sel:DWORD dst_unused:UNUSED_PAD src0_sel:WORD_0 src1_sel:DWORD
	v_mul_u32_u24_sdwa v76, v76, v47 dst_sel:DWORD dst_unused:UNUSED_PAD src0_sel:WORD_1 src1_sel:DWORD
	v_pk_fma_f16 v60, v70, v93, v60
	v_pk_fma_f16 v72, v70, v74, v72
	s_waitcnt lgkmcnt(1)
	v_pk_fma_f16 v74, v55, v73, v84
	v_pk_fma_f16 v61, v55, v75, v61
	;; [unrolled: 1-line block ×16, first 2 shown]
	s_waitcnt lgkmcnt(0)
	v_pk_fma_f16 v103, v63, v73, v104
	v_pk_fma_f16 v104, v63, v75, v106
	ds_read2_b64 v[55:58], v53 offset0:128 offset1:160
	v_pk_fma_f16 v86, v63, v91, v86
	v_pk_fma_f16 v63, v63, v76, v67
	;; [unrolled: 1-line block ×10, first 2 shown]
	ds_read2_b64 v[67:70], v53 offset0:192 offset1:224
	v_pk_fma_f16 v73, v66, v73, v83
	v_pk_fma_f16 v71, v66, v75, v71
	v_mul_u32_u24_sdwa v75, v77, v47 dst_sel:DWORD dst_unused:UNUSED_PAD src0_sel:WORD_0 src1_sel:DWORD
	v_mul_u32_u24_sdwa v77, v77, v47 dst_sel:DWORD dst_unused:UNUSED_PAD src0_sel:WORD_1 src1_sel:DWORD
	v_mul_u32_u24_sdwa v83, v78, v47 dst_sel:DWORD dst_unused:UNUSED_PAD src0_sel:WORD_0 src1_sel:DWORD
	v_mul_u32_u24_sdwa v78, v78, v47 dst_sel:DWORD dst_unused:UNUSED_PAD src0_sel:WORD_1 src1_sel:DWORD
	v_pk_fma_f16 v60, v66, v91, v60
	v_pk_fma_f16 v72, v66, v76, v72
	s_waitcnt lgkmcnt(1)
	v_pk_fma_f16 v91, v56, v77, v93
	v_pk_fma_f16 v76, v55, v83, v84
	;; [unrolled: 1-line block ×13, first 2 shown]
	s_waitcnt lgkmcnt(0)
	v_pk_fma_f16 v101, v67, v75, v103
	v_pk_fma_f16 v102, v67, v77, v104
	;; [unrolled: 1-line block ×6, first 2 shown]
	ds_read2_b64 v[63:66], v54 offset0:64 offset1:96
	v_pk_fma_f16 v74, v55, v75, v74
	v_pk_fma_f16 v61, v55, v77, v61
	;; [unrolled: 1-line block ×3, first 2 shown]
	ds_read2_b64 v[55:58], v54 offset1:32
	s_or_b32 s0, s8, 32
	v_pk_fma_f16 v81, v68, v75, v81
	s_mul_hi_i32 s25, s0, s9
	s_mul_i32 s24, s0, s9
	v_pk_fma_f16 v85, v68, v77, v85
	s_lshl_b64 s[24:25], s[24:25], 2
	v_pk_fma_f16 v87, v68, v83, v87
	v_pk_fma_f16 v59, v68, v78, v59
	v_mul_u32_u24_sdwa v177, v5, v47 dst_sel:DWORD dst_unused:UNUSED_PAD src0_sel:WORD_0 src1_sel:DWORD
	v_mul_u32_u24_sdwa v178, v5, v47 dst_sel:DWORD dst_unused:UNUSED_PAD src0_sel:WORD_1 src1_sel:DWORD
	v_mul_u32_u24_sdwa v179, v6, v47 dst_sel:DWORD dst_unused:UNUSED_PAD src0_sel:WORD_0 src1_sel:DWORD
	v_mul_u32_u24_sdwa v180, v6, v47 dst_sel:DWORD dst_unused:UNUSED_PAD src0_sel:WORD_1 src1_sel:DWORD
	s_add_u32 s0, s12, s24
	s_addc_u32 s19, s13, s25
	v_add_co_u32 v5, vcc_lo, s0, v27
	s_waitcnt lgkmcnt(1)
	v_pk_fma_f16 v199, v64, v177, v81
	v_pk_fma_f16 v200, v64, v178, v85
	;; [unrolled: 1-line block ×4, first 2 shown]
	v_add_co_ci_u32_e64 v6, null, s19, v28, vcc_lo
	v_add_co_u32 v59, vcc_lo, s0, v29
	v_pk_fma_f16 v176, v70, v83, v60
	v_add_co_ci_u32_e64 v60, null, s19, v30, vcc_lo
	v_add_co_u32 v5, vcc_lo, v5, v89
	v_add_co_ci_u32_e64 v6, null, 0, v6, vcc_lo
	v_add_co_u32 v59, vcc_lo, v59, v89
	v_add_co_ci_u32_e64 v60, null, 0, v60, vcc_lo
	v_pk_fma_f16 v171, v69, v77, v82
	v_pk_fma_f16 v172, v69, v83, v90
	;; [unrolled: 1-line block ×5, first 2 shown]
	s_waitcnt lgkmcnt(0)
	v_pk_fma_f16 v182, v55, v177, v74
	v_pk_fma_f16 v61, v55, v178, v61
	;; [unrolled: 1-line block ×20, first 2 shown]
	ds_read2_b64 v[55:58], v54 offset0:128 offset1:160
	ds_read2_b64 v[67:70], v54 offset0:192 offset1:224
	ds_read2_b64 v[71:74], v51 offset1:32
	ds_read2_b64 v[75:78], v51 offset0:64 offset1:96
	ds_read2_b64 v[81:84], v51 offset0:128 offset1:160
	;; [unrolled: 1-line block ×3, first 2 shown]
	ds_read2_b64 v[90:93], v50 offset1:32
	ds_read2_b64 v[94:97], v50 offset0:64 offset1:96
	ds_read_b128 v[98:101], v41 offset:192
	ds_read_b128 v[102:105], v41 offset:208
	ds_read2_b64 v[106:109], v50 offset0:128 offset1:160
	ds_read2_b64 v[110:113], v50 offset0:192 offset1:224
	ds_read2_b64 v[114:117], v49 offset1:32
	ds_read2_b64 v[118:121], v49 offset0:64 offset1:96
	ds_read2_b64 v[122:125], v49 offset0:128 offset1:160
	;; [unrolled: 1-line block ×3, first 2 shown]
	ds_read2_b64 v[130:133], v48 offset1:32
	ds_read2_b64 v[134:137], v48 offset0:64 offset1:96
	ds_read_b128 v[138:141], v41 offset:224
	ds_read_b128 v[142:145], v41 offset:240
	ds_read2_b64 v[146:149], v48 offset0:128 offset1:160
	ds_read2_b64 v[150:153], v48 offset0:192 offset1:224
	s_waitcnt lgkmcnt(0)
	s_barrier
	buffer_gl0_inv
	s_clause 0x3
	global_load_dwordx4 v[154:157], v[5:6], off
	global_load_dwordx4 v[158:161], v[5:6], off offset:512
	global_load_dwordx4 v[162:165], v[59:60], off
	global_load_dwordx4 v[166:169], v[59:60], off offset:512
	v_pk_fma_f16 v5, v65, v177, v170
	v_pk_fma_f16 v6, v65, v178, v171
	v_pk_fma_f16 v59, v65, v179, v172
	v_pk_fma_f16 v60, v65, v180, v173
	v_pk_fma_f16 v65, v66, v177, v174
	v_pk_fma_f16 v170, v66, v178, v175
	v_pk_fma_f16 v171, v66, v179, v176
	v_mul_u32_u24_sdwa v172, v7, v47 dst_sel:DWORD dst_unused:UNUSED_PAD src0_sel:WORD_0 src1_sel:DWORD
	v_mul_u32_u24_sdwa v7, v7, v47 dst_sel:DWORD dst_unused:UNUSED_PAD src0_sel:WORD_1 src1_sel:DWORD
	v_mul_u32_u24_sdwa v173, v8, v47 dst_sel:DWORD dst_unused:UNUSED_PAD src0_sel:WORD_0 src1_sel:DWORD
	v_mul_u32_u24_sdwa v8, v8, v47 dst_sel:DWORD dst_unused:UNUSED_PAD src0_sel:WORD_1 src1_sel:DWORD
	v_pk_fma_f16 v66, v66, v180, v181
	v_pk_fma_f16 v174, v55, v172, v182
	v_pk_fma_f16 v61, v55, v7, v61
	v_pk_fma_f16 v175, v55, v173, v183
	v_pk_fma_f16 v55, v55, v8, v184
	v_pk_fma_f16 v176, v56, v172, v185
	v_pk_fma_f16 v177, v56, v7, v186
	v_pk_fma_f16 v178, v56, v173, v187
	v_pk_fma_f16 v56, v56, v8, v188
	v_pk_fma_f16 v179, v57, v172, v189
	v_pk_fma_f16 v79, v57, v7, v79
	v_pk_fma_f16 v180, v57, v173, v190
	v_pk_fma_f16 v57, v57, v8, v191
	v_pk_fma_f16 v181, v58, v172, v192
	v_pk_fma_f16 v182, v58, v7, v193
	v_pk_fma_f16 v183, v58, v173, v194
	v_pk_fma_f16 v58, v58, v8, v195
	v_pk_fma_f16 v184, v67, v172, v196
	v_pk_fma_f16 v185, v67, v7, v197
	v_pk_fma_f16 v186, v67, v173, v198
	v_pk_fma_f16 v63, v67, v8, v63
	v_pk_fma_f16 v67, v68, v172, v199
	v_pk_fma_f16 v187, v68, v7, v200
	v_pk_fma_f16 v188, v68, v173, v201
	v_pk_fma_f16 v64, v68, v8, v64
	v_pk_fma_f16 v5, v69, v172, v5
	v_pk_fma_f16 v6, v69, v7, v6
	v_pk_fma_f16 v59, v69, v173, v59
	v_pk_fma_f16 v60, v69, v8, v60
	v_pk_fma_f16 v65, v70, v172, v65
	v_pk_fma_f16 v7, v70, v7, v170
	v_pk_fma_f16 v68, v70, v173, v171
	v_mul_u32_u24_sdwa v69, v98, v47 dst_sel:DWORD dst_unused:UNUSED_PAD src0_sel:WORD_0 src1_sel:DWORD
	v_mul_u32_u24_sdwa v98, v98, v47 dst_sel:DWORD dst_unused:UNUSED_PAD src0_sel:WORD_1 src1_sel:DWORD
	v_mul_u32_u24_sdwa v170, v99, v47 dst_sel:DWORD dst_unused:UNUSED_PAD src0_sel:WORD_0 src1_sel:DWORD
	v_mul_u32_u24_sdwa v99, v99, v47 dst_sel:DWORD dst_unused:UNUSED_PAD src0_sel:WORD_1 src1_sel:DWORD
	v_pk_fma_f16 v8, v70, v8, v66
	v_pk_fma_f16 v66, v71, v69, v174
	v_pk_fma_f16 v61, v71, v98, v61
	v_pk_fma_f16 v70, v71, v170, v175
	v_pk_fma_f16 v55, v71, v99, v55
	v_pk_fma_f16 v71, v72, v69, v176
	v_pk_fma_f16 v171, v72, v98, v177
	v_pk_fma_f16 v172, v72, v170, v178
	v_pk_fma_f16 v56, v72, v99, v56
	v_pk_fma_f16 v72, v73, v69, v179
	v_pk_fma_f16 v79, v73, v98, v79
	v_pk_fma_f16 v173, v73, v170, v180
	v_pk_fma_f16 v57, v73, v99, v57
	v_pk_fma_f16 v73, v74, v69, v181
	v_pk_fma_f16 v174, v74, v98, v182
	v_pk_fma_f16 v175, v74, v170, v183
	v_pk_fma_f16 v58, v74, v99, v58
	v_pk_fma_f16 v74, v75, v69, v184
	v_pk_fma_f16 v176, v75, v98, v185
	v_pk_fma_f16 v177, v75, v170, v186
	v_pk_fma_f16 v63, v75, v99, v63
	v_pk_fma_f16 v67, v76, v69, v67
	v_pk_fma_f16 v75, v76, v98, v187
	v_pk_fma_f16 v178, v76, v170, v188
	v_pk_fma_f16 v64, v76, v99, v64
	;; [unrolled: 36-line block ×3, first 2 shown]
	v_pk_fma_f16 v5, v87, v69, v5
	v_pk_fma_f16 v6, v87, v76, v6
	;; [unrolled: 1-line block ×6, first 2 shown]
	v_mul_u32_u24_sdwa v69, v102, v47 dst_sel:DWORD dst_unused:UNUSED_PAD src0_sel:WORD_0 src1_sel:DWORD
	v_mul_u32_u24_sdwa v76, v102, v47 dst_sel:DWORD dst_unused:UNUSED_PAD src0_sel:WORD_1 src1_sel:DWORD
	v_mul_u32_u24_sdwa v77, v103, v47 dst_sel:DWORD dst_unused:UNUSED_PAD src0_sel:WORD_0 src1_sel:DWORD
	v_mul_u32_u24_sdwa v86, v103, v47 dst_sel:DWORD dst_unused:UNUSED_PAD src0_sel:WORD_1 src1_sel:DWORD
	v_pk_fma_f16 v60, v87, v98, v60
	v_pk_fma_f16 v8, v88, v98, v8
	;; [unrolled: 1-line block ×16, first 2 shown]
	v_mul_u32_u24_sdwa v77, v105, v47 dst_sel:DWORD dst_unused:UNUSED_PAD src0_sel:WORD_0 src1_sel:DWORD
	v_mul_u32_u24_sdwa v90, v105, v47 dst_sel:DWORD dst_unused:UNUSED_PAD src0_sel:WORD_1 src1_sel:DWORD
	v_pk_fma_f16 v71, v91, v69, v71
	v_pk_fma_f16 v78, v91, v76, v78
	;; [unrolled: 1-line block ×17, first 2 shown]
	v_mul_u32_u24_sdwa v69, v104, v47 dst_sel:DWORD dst_unused:UNUSED_PAD src0_sel:WORD_0 src1_sel:DWORD
	v_mul_u32_u24_sdwa v76, v104, v47 dst_sel:DWORD dst_unused:UNUSED_PAD src0_sel:WORD_1 src1_sel:DWORD
	v_pk_fma_f16 v8, v97, v86, v8
	v_pk_fma_f16 v55, v106, v90, v55
	v_pk_fma_f16 v56, v107, v90, v56
	v_pk_fma_f16 v57, v108, v90, v57
	v_pk_fma_f16 v86, v109, v77, v87
	v_pk_fma_f16 v58, v109, v90, v58
	v_pk_fma_f16 v87, v110, v77, v88
	v_mul_u32_u24_sdwa v88, v139, v47 dst_sel:DWORD dst_unused:UNUSED_PAD src0_sel:WORD_1 src1_sel:DWORD
	v_pk_fma_f16 v66, v106, v69, v66
	v_pk_fma_f16 v61, v106, v76, v61
	;; [unrolled: 1-line block ×19, first 2 shown]
	v_mul_u32_u24_sdwa v69, v138, v47 dst_sel:DWORD dst_unused:UNUSED_PAD src0_sel:WORD_0 src1_sel:DWORD
	v_mul_u32_u24_sdwa v76, v138, v47 dst_sel:DWORD dst_unused:UNUSED_PAD src0_sel:WORD_1 src1_sel:DWORD
	v_pk_fma_f16 v8, v113, v90, v8
	v_pk_fma_f16 v55, v114, v88, v55
	;; [unrolled: 1-line block ×5, first 2 shown]
	v_mul_u32_u24_sdwa v90, v141, v47 dst_sel:DWORD dst_unused:UNUSED_PAD src0_sel:WORD_1 src1_sel:DWORD
	v_pk_fma_f16 v66, v114, v69, v66
	v_pk_fma_f16 v61, v114, v76, v61
	;; [unrolled: 1-line block ×19, first 2 shown]
	v_mul_u32_u24_sdwa v69, v140, v47 dst_sel:DWORD dst_unused:UNUSED_PAD src0_sel:WORD_0 src1_sel:DWORD
	v_mul_u32_u24_sdwa v76, v140, v47 dst_sel:DWORD dst_unused:UNUSED_PAD src0_sel:WORD_1 src1_sel:DWORD
	v_pk_fma_f16 v8, v121, v88, v8
	v_pk_fma_f16 v55, v122, v90, v55
	;; [unrolled: 1-line block ×5, first 2 shown]
	v_mul_u32_u24_sdwa v88, v143, v47 dst_sel:DWORD dst_unused:UNUSED_PAD src0_sel:WORD_1 src1_sel:DWORD
	v_pk_fma_f16 v66, v122, v69, v66
	v_pk_fma_f16 v61, v122, v76, v61
	;; [unrolled: 1-line block ×17, first 2 shown]
	v_mul_u32_u24_sdwa v69, v142, v47 dst_sel:DWORD dst_unused:UNUSED_PAD src0_sel:WORD_0 src1_sel:DWORD
	v_mul_u32_u24_sdwa v76, v142, v47 dst_sel:DWORD dst_unused:UNUSED_PAD src0_sel:WORD_1 src1_sel:DWORD
	v_pk_fma_f16 v55, v130, v88, v55
	v_pk_fma_f16 v56, v131, v88, v56
	;; [unrolled: 1-line block ×4, first 2 shown]
	v_mul_u32_u24_sdwa v92, v145, v47 dst_sel:DWORD dst_unused:UNUSED_PAD src0_sel:WORD_1 src1_sel:DWORD
	v_pk_fma_f16 v70, v106, v77, v70
	v_pk_fma_f16 v81, v107, v77, v81
	;; [unrolled: 1-line block ×6, first 2 shown]
	v_mul_u32_u24_sdwa v77, v139, v47 dst_sel:DWORD dst_unused:UNUSED_PAD src0_sel:WORD_0 src1_sel:DWORD
	v_pk_fma_f16 v64, v127, v90, v64
	v_pk_fma_f16 v60, v128, v90, v60
	;; [unrolled: 1-line block ×13, first 2 shown]
	v_mul_u32_u24_sdwa v76, v144, v47 dst_sel:DWORD dst_unused:UNUSED_PAD src0_sel:WORD_0 src1_sel:DWORD
	v_pk_fma_f16 v94, v146, v92, v55
	v_pk_fma_f16 v97, v147, v92, v56
	;; [unrolled: 1-line block ×4, first 2 shown]
	s_waitcnt vmcnt(3)
	ds_write_b128 v42, v[154:157]
	s_waitcnt vmcnt(2)
	ds_write_b128 v43, v[158:161]
	;; [unrolled: 2-line block ×4, first 2 shown]
	s_waitcnt lgkmcnt(0)
	s_barrier
	buffer_gl0_inv
	ds_read_b128 v[55:58], v41 offset:256
	v_pk_fma_f16 v70, v114, v77, v70
	v_pk_fma_f16 v81, v115, v77, v81
	;; [unrolled: 1-line block ×8, first 2 shown]
	v_mul_u32_u24_sdwa v77, v141, v47 dst_sel:DWORD dst_unused:UNUSED_PAD src0_sel:WORD_0 src1_sel:DWORD
	v_pk_fma_f16 v71, v131, v69, v71
	v_pk_fma_f16 v72, v132, v69, v72
	;; [unrolled: 1-line block ×12, first 2 shown]
	ds_read2_b64 v[63:66], v62 offset1:32
	v_pk_fma_f16 v70, v122, v77, v70
	v_pk_fma_f16 v81, v123, v77, v81
	;; [unrolled: 1-line block ×8, first 2 shown]
	v_mul_u32_u24_sdwa v77, v143, v47 dst_sel:DWORD dst_unused:UNUSED_PAD src0_sel:WORD_0 src1_sel:DWORD
	v_mul_u32_u24_sdwa v91, v145, v47 dst_sel:DWORD dst_unused:UNUSED_PAD src0_sel:WORD_0 src1_sel:DWORD
	v_pk_fma_f16 v95, v147, v76, v71
	v_pk_fma_f16 v98, v148, v76, v72
	;; [unrolled: 1-line block ×11, first 2 shown]
	v_mul_u32_u24_sdwa v77, v144, v47 dst_sel:DWORD dst_unused:UNUSED_PAD src0_sel:WORD_1 src1_sel:DWORD
	v_pk_fma_f16 v93, v146, v91, v70
	v_pk_fma_f16 v81, v147, v91, v81
	;; [unrolled: 1-line block ×8, first 2 shown]
	s_waitcnt lgkmcnt(1)
	v_mul_u32_u24_sdwa v110, v55, v47 dst_sel:DWORD dst_unused:UNUSED_PAD src0_sel:WORD_0 src1_sel:DWORD
	v_mul_u32_u24_sdwa v55, v55, v47 dst_sel:DWORD dst_unused:UNUSED_PAD src0_sel:WORD_1 src1_sel:DWORD
	v_mul_u32_u24_sdwa v111, v56, v47 dst_sel:DWORD dst_unused:UNUSED_PAD src0_sel:WORD_0 src1_sel:DWORD
	v_mul_u32_u24_sdwa v56, v56, v47 dst_sel:DWORD dst_unused:UNUSED_PAD src0_sel:WORD_1 src1_sel:DWORD
	v_pk_fma_f16 v102, v150, v76, v74
	v_pk_fma_f16 v87, v150, v91, v87
	;; [unrolled: 1-line block ×7, first 2 shown]
	ds_read2_b64 v[67:70], v62 offset0:64 offset1:96
	ds_read_b128 v[71:74], v41 offset:272
	v_pk_fma_f16 v84, v150, v77, v84
	v_pk_fma_f16 v105, v151, v77, v75
	;; [unrolled: 1-line block ×8, first 2 shown]
	ds_read_b128 v[75:78], v41 offset:288
	ds_read_b128 v[5:8], v41 offset:304
	s_waitcnt lgkmcnt(4)
	v_pk_fma_f16 v88, v63, v110, v88
	v_pk_fma_f16 v61, v63, v55, v61
	v_pk_fma_f16 v93, v63, v111, v93
	v_pk_fma_f16 v94, v63, v56, v94
	v_pk_fma_f16 v95, v64, v110, v95
	v_pk_fma_f16 v96, v64, v55, v96
	v_pk_fma_f16 v112, v64, v111, v81
	v_pk_fma_f16 v97, v64, v56, v97
	v_pk_fma_f16 v98, v65, v110, v98
	v_pk_fma_f16 v79, v65, v55, v79
	v_pk_fma_f16 v113, v65, v111, v82
	v_pk_fma_f16 v99, v65, v56, v99
	v_pk_fma_f16 v100, v66, v110, v100
	v_pk_fma_f16 v114, v66, v55, v83
	v_pk_fma_f16 v86, v66, v111, v86
	v_pk_fma_f16 v101, v66, v56, v101
	ds_read2_b64 v[63:66], v62 offset0:128 offset1:160
	s_waitcnt lgkmcnt(4)
	v_pk_fma_f16 v102, v67, v110, v102
	v_pk_fma_f16 v115, v67, v55, v84
	;; [unrolled: 1-line block ×14, first 2 shown]
	ds_read2_b64 v[81:84], v62 offset0:192 offset1:224
	v_mul_u32_u24_sdwa v107, v57, v47 dst_sel:DWORD dst_unused:UNUSED_PAD src0_sel:WORD_0 src1_sel:DWORD
	v_mul_u32_u24_sdwa v108, v57, v47 dst_sel:DWORD dst_unused:UNUSED_PAD src0_sel:WORD_1 src1_sel:DWORD
	v_mul_u32_u24_sdwa v109, v58, v47 dst_sel:DWORD dst_unused:UNUSED_PAD src0_sel:WORD_0 src1_sel:DWORD
	v_mul_u32_u24_sdwa v110, v58, v47 dst_sel:DWORD dst_unused:UNUSED_PAD src0_sel:WORD_1 src1_sel:DWORD
	v_pk_fma_f16 v91, v70, v111, v91
	v_pk_fma_f16 v70, v70, v56, v92
	s_waitcnt lgkmcnt(1)
	v_pk_fma_f16 v88, v63, v107, v88
	v_pk_fma_f16 v61, v63, v108, v61
	;; [unrolled: 1-line block ×16, first 2 shown]
	ds_read2_b64 v[55:58], v52 offset1:32
	ds_read2_b64 v[63:66], v52 offset0:64 offset1:96
	s_waitcnt lgkmcnt(2)
	v_pk_fma_f16 v102, v81, v107, v102
	v_pk_fma_f16 v113, v81, v108, v115
	;; [unrolled: 1-line block ×13, first 2 shown]
	v_mul_u32_u24_sdwa v104, v71, v47 dst_sel:DWORD dst_unused:UNUSED_PAD src0_sel:WORD_0 src1_sel:DWORD
	v_mul_u32_u24_sdwa v71, v71, v47 dst_sel:DWORD dst_unused:UNUSED_PAD src0_sel:WORD_1 src1_sel:DWORD
	v_mul_u32_u24_sdwa v105, v72, v47 dst_sel:DWORD dst_unused:UNUSED_PAD src0_sel:WORD_0 src1_sel:DWORD
	v_mul_u32_u24_sdwa v72, v72, v47 dst_sel:DWORD dst_unused:UNUSED_PAD src0_sel:WORD_1 src1_sel:DWORD
	v_pk_fma_f16 v83, v84, v108, v106
	v_pk_fma_f16 v91, v84, v109, v91
	;; [unrolled: 1-line block ×3, first 2 shown]
	s_waitcnt lgkmcnt(1)
	v_pk_fma_f16 v88, v55, v104, v88
	v_pk_fma_f16 v61, v55, v71, v61
	v_pk_fma_f16 v92, v55, v105, v92
	v_pk_fma_f16 v93, v55, v72, v93
	v_pk_fma_f16 v94, v56, v104, v94
	v_pk_fma_f16 v95, v56, v71, v95
	v_pk_fma_f16 v96, v56, v105, v96
	v_pk_fma_f16 v97, v56, v72, v97
	v_pk_fma_f16 v98, v57, v104, v98
	v_pk_fma_f16 v79, v57, v71, v79
	v_pk_fma_f16 v106, v57, v105, v111
	v_pk_fma_f16 v99, v57, v72, v99
	v_pk_fma_f16 v100, v58, v104, v100
	v_pk_fma_f16 v107, v58, v71, v112
	v_pk_fma_f16 v86, v58, v105, v86
	v_pk_fma_f16 v101, v58, v72, v101
	s_waitcnt lgkmcnt(0)
	v_pk_fma_f16 v102, v63, v104, v102
	v_pk_fma_f16 v108, v63, v71, v113
	ds_read2_b64 v[55:58], v52 offset0:128 offset1:160
	v_pk_fma_f16 v87, v63, v105, v87
	v_pk_fma_f16 v63, v63, v72, v67
	;; [unrolled: 1-line block ×11, first 2 shown]
	ds_read2_b64 v[67:70], v52 offset0:192 offset1:224
	v_pk_fma_f16 v71, v66, v71, v83
	v_pk_fma_f16 v83, v66, v105, v91
	v_mul_u32_u24_sdwa v91, v73, v47 dst_sel:DWORD dst_unused:UNUSED_PAD src0_sel:WORD_0 src1_sel:DWORD
	v_mul_u32_u24_sdwa v73, v73, v47 dst_sel:DWORD dst_unused:UNUSED_PAD src0_sel:WORD_1 src1_sel:DWORD
	v_mul_u32_u24_sdwa v104, v74, v47 dst_sel:DWORD dst_unused:UNUSED_PAD src0_sel:WORD_0 src1_sel:DWORD
	v_mul_u32_u24_sdwa v74, v74, v47 dst_sel:DWORD dst_unused:UNUSED_PAD src0_sel:WORD_1 src1_sel:DWORD
	v_pk_fma_f16 v72, v66, v72, v84
	s_waitcnt lgkmcnt(1)
	v_pk_fma_f16 v84, v55, v91, v88
	v_pk_fma_f16 v61, v55, v73, v61
	;; [unrolled: 1-line block ×16, first 2 shown]
	s_waitcnt lgkmcnt(0)
	v_pk_fma_f16 v102, v67, v91, v102
	v_pk_fma_f16 v106, v67, v73, v108
	ds_read2_b64 v[55:58], v53 offset1:32
	v_pk_fma_f16 v87, v67, v104, v87
	v_pk_fma_f16 v67, v67, v74, v63
	;; [unrolled: 1-line block ×11, first 2 shown]
	ds_read2_b64 v[63:66], v53 offset0:64 offset1:96
	v_pk_fma_f16 v71, v70, v73, v71
	v_pk_fma_f16 v73, v70, v104, v83
	v_mul_u32_u24_sdwa v83, v75, v47 dst_sel:DWORD dst_unused:UNUSED_PAD src0_sel:WORD_0 src1_sel:DWORD
	v_mul_u32_u24_sdwa v75, v75, v47 dst_sel:DWORD dst_unused:UNUSED_PAD src0_sel:WORD_1 src1_sel:DWORD
	v_mul_u32_u24_sdwa v91, v76, v47 dst_sel:DWORD dst_unused:UNUSED_PAD src0_sel:WORD_0 src1_sel:DWORD
	v_mul_u32_u24_sdwa v76, v76, v47 dst_sel:DWORD dst_unused:UNUSED_PAD src0_sel:WORD_1 src1_sel:DWORD
	v_pk_fma_f16 v72, v70, v74, v72
	s_waitcnt lgkmcnt(1)
	v_pk_fma_f16 v74, v55, v83, v84
	v_pk_fma_f16 v61, v55, v75, v61
	;; [unrolled: 1-line block ×16, first 2 shown]
	s_waitcnt lgkmcnt(0)
	v_pk_fma_f16 v102, v63, v83, v102
	v_pk_fma_f16 v104, v63, v75, v106
	ds_read2_b64 v[55:58], v53 offset0:128 offset1:160
	v_pk_fma_f16 v87, v63, v91, v87
	v_pk_fma_f16 v63, v63, v76, v67
	;; [unrolled: 1-line block ×11, first 2 shown]
	ds_read2_b64 v[67:70], v53 offset0:192 offset1:224
	v_pk_fma_f16 v71, v66, v75, v71
	v_mul_u32_u24_sdwa v75, v77, v47 dst_sel:DWORD dst_unused:UNUSED_PAD src0_sel:WORD_0 src1_sel:DWORD
	v_mul_u32_u24_sdwa v77, v77, v47 dst_sel:DWORD dst_unused:UNUSED_PAD src0_sel:WORD_1 src1_sel:DWORD
	v_mul_u32_u24_sdwa v83, v78, v47 dst_sel:DWORD dst_unused:UNUSED_PAD src0_sel:WORD_0 src1_sel:DWORD
	v_mul_u32_u24_sdwa v78, v78, v47 dst_sel:DWORD dst_unused:UNUSED_PAD src0_sel:WORD_1 src1_sel:DWORD
	v_pk_fma_f16 v73, v66, v91, v73
	v_pk_fma_f16 v72, v66, v76, v72
	s_waitcnt lgkmcnt(1)
	v_pk_fma_f16 v74, v55, v75, v74
	v_pk_fma_f16 v61, v55, v77, v61
	;; [unrolled: 1-line block ×16, first 2 shown]
	s_waitcnt lgkmcnt(0)
	v_pk_fma_f16 v100, v67, v75, v102
	v_pk_fma_f16 v101, v67, v77, v104
	ds_read2_b64 v[55:58], v54 offset1:32
	v_pk_fma_f16 v87, v67, v83, v87
	v_pk_fma_f16 v67, v67, v78, v63
	;; [unrolled: 1-line block ×7, first 2 shown]
	ds_read2_b64 v[63:66], v54 offset0:64 offset1:96
	s_or_b32 s0, s8, 48
	v_mul_u32_u24_sdwa v177, v5, v47 dst_sel:DWORD dst_unused:UNUSED_PAD src0_sel:WORD_0 src1_sel:DWORD
	s_mul_hi_i32 s25, s0, s9
	s_mul_i32 s24, s0, s9
	v_mul_u32_u24_sdwa v178, v5, v47 dst_sel:DWORD dst_unused:UNUSED_PAD src0_sel:WORD_1 src1_sel:DWORD
	s_lshl_b64 s[24:25], s[24:25], 2
	v_pk_fma_f16 v172, v69, v83, v59
	s_add_u32 s0, s12, s24
	s_addc_u32 s19, s13, s25
	v_add_co_u32 v5, vcc_lo, s0, v27
	v_mul_u32_u24_sdwa v179, v6, v47 dst_sel:DWORD dst_unused:UNUSED_PAD src0_sel:WORD_0 src1_sel:DWORD
	v_mul_u32_u24_sdwa v180, v6, v47 dst_sel:DWORD dst_unused:UNUSED_PAD src0_sel:WORD_1 src1_sel:DWORD
	v_add_co_ci_u32_e64 v6, null, s19, v28, vcc_lo
	v_add_co_u32 v59, vcc_lo, s0, v29
	v_pk_fma_f16 v173, v69, v78, v60
	v_add_co_ci_u32_e64 v60, null, s19, v30, vcc_lo
	v_add_co_u32 v5, vcc_lo, v5, v89
	v_add_co_ci_u32_e64 v6, null, 0, v6, vcc_lo
	v_add_co_u32 v59, vcc_lo, v59, v89
	v_add_co_ci_u32_e64 v60, null, 0, v60, vcc_lo
	v_pk_fma_f16 v170, v69, v75, v82
	v_pk_fma_f16 v171, v69, v77, v90
	;; [unrolled: 1-line block ×5, first 2 shown]
	s_waitcnt lgkmcnt(1)
	v_pk_fma_f16 v182, v55, v177, v74
	v_pk_fma_f16 v61, v55, v178, v61
	;; [unrolled: 1-line block ×16, first 2 shown]
	s_waitcnt lgkmcnt(0)
	v_pk_fma_f16 v196, v63, v177, v100
	v_pk_fma_f16 v197, v63, v178, v101
	;; [unrolled: 1-line block ×8, first 2 shown]
	ds_read2_b64 v[55:58], v54 offset0:128 offset1:160
	ds_read2_b64 v[67:70], v54 offset0:192 offset1:224
	ds_read2_b64 v[71:74], v51 offset1:32
	ds_read2_b64 v[75:78], v51 offset0:64 offset1:96
	ds_read2_b64 v[81:84], v51 offset0:128 offset1:160
	ds_read2_b64 v[85:88], v51 offset0:192 offset1:224
	ds_read2_b64 v[90:93], v50 offset1:32
	ds_read2_b64 v[94:97], v50 offset0:64 offset1:96
	ds_read_b128 v[98:101], v41 offset:320
	ds_read_b128 v[102:105], v41 offset:336
	ds_read2_b64 v[106:109], v50 offset0:128 offset1:160
	ds_read2_b64 v[110:113], v50 offset0:192 offset1:224
	ds_read2_b64 v[114:117], v49 offset1:32
	ds_read2_b64 v[118:121], v49 offset0:64 offset1:96
	ds_read2_b64 v[122:125], v49 offset0:128 offset1:160
	;; [unrolled: 1-line block ×3, first 2 shown]
	ds_read2_b64 v[130:133], v48 offset1:32
	ds_read2_b64 v[134:137], v48 offset0:64 offset1:96
	ds_read_b128 v[138:141], v41 offset:352
	ds_read_b128 v[142:145], v41 offset:368
	ds_read2_b64 v[146:149], v48 offset0:128 offset1:160
	ds_read2_b64 v[150:153], v48 offset0:192 offset1:224
	s_waitcnt lgkmcnt(0)
	s_barrier
	buffer_gl0_inv
	s_clause 0x3
	global_load_dwordx4 v[154:157], v[5:6], off
	global_load_dwordx4 v[158:161], v[5:6], off offset:512
	global_load_dwordx4 v[162:165], v[59:60], off
	global_load_dwordx4 v[166:169], v[59:60], off offset:512
	v_pk_fma_f16 v5, v65, v177, v170
	v_pk_fma_f16 v6, v65, v178, v171
	v_pk_fma_f16 v59, v65, v179, v172
	v_pk_fma_f16 v60, v65, v180, v173
	v_pk_fma_f16 v65, v66, v177, v174
	v_pk_fma_f16 v170, v66, v178, v175
	v_pk_fma_f16 v171, v66, v179, v176
	v_mul_u32_u24_sdwa v172, v7, v47 dst_sel:DWORD dst_unused:UNUSED_PAD src0_sel:WORD_0 src1_sel:DWORD
	v_mul_u32_u24_sdwa v7, v7, v47 dst_sel:DWORD dst_unused:UNUSED_PAD src0_sel:WORD_1 src1_sel:DWORD
	v_mul_u32_u24_sdwa v173, v8, v47 dst_sel:DWORD dst_unused:UNUSED_PAD src0_sel:WORD_0 src1_sel:DWORD
	v_mul_u32_u24_sdwa v8, v8, v47 dst_sel:DWORD dst_unused:UNUSED_PAD src0_sel:WORD_1 src1_sel:DWORD
	v_pk_fma_f16 v66, v66, v180, v181
	v_pk_fma_f16 v174, v55, v172, v182
	v_pk_fma_f16 v61, v55, v7, v61
	v_pk_fma_f16 v175, v55, v173, v183
	v_pk_fma_f16 v55, v55, v8, v184
	v_pk_fma_f16 v176, v56, v172, v185
	v_pk_fma_f16 v177, v56, v7, v186
	v_pk_fma_f16 v178, v56, v173, v187
	v_pk_fma_f16 v56, v56, v8, v188
	v_pk_fma_f16 v179, v57, v172, v189
	v_pk_fma_f16 v79, v57, v7, v79
	v_pk_fma_f16 v180, v57, v173, v190
	v_pk_fma_f16 v57, v57, v8, v191
	v_pk_fma_f16 v181, v58, v172, v192
	v_pk_fma_f16 v182, v58, v7, v193
	v_pk_fma_f16 v183, v58, v173, v194
	v_pk_fma_f16 v58, v58, v8, v195
	v_pk_fma_f16 v184, v67, v172, v196
	v_pk_fma_f16 v185, v67, v7, v197
	v_pk_fma_f16 v186, v67, v173, v198
	v_pk_fma_f16 v63, v67, v8, v63
	v_pk_fma_f16 v67, v68, v172, v199
	v_pk_fma_f16 v187, v68, v7, v200
	v_pk_fma_f16 v188, v68, v173, v201
	v_pk_fma_f16 v64, v68, v8, v64
	v_pk_fma_f16 v5, v69, v172, v5
	v_pk_fma_f16 v6, v69, v7, v6
	v_pk_fma_f16 v59, v69, v173, v59
	v_pk_fma_f16 v60, v69, v8, v60
	v_pk_fma_f16 v65, v70, v172, v65
	v_pk_fma_f16 v7, v70, v7, v170
	v_pk_fma_f16 v68, v70, v173, v171
	v_mul_u32_u24_sdwa v69, v98, v47 dst_sel:DWORD dst_unused:UNUSED_PAD src0_sel:WORD_0 src1_sel:DWORD
	v_mul_u32_u24_sdwa v98, v98, v47 dst_sel:DWORD dst_unused:UNUSED_PAD src0_sel:WORD_1 src1_sel:DWORD
	v_mul_u32_u24_sdwa v170, v99, v47 dst_sel:DWORD dst_unused:UNUSED_PAD src0_sel:WORD_0 src1_sel:DWORD
	v_mul_u32_u24_sdwa v99, v99, v47 dst_sel:DWORD dst_unused:UNUSED_PAD src0_sel:WORD_1 src1_sel:DWORD
	v_pk_fma_f16 v8, v70, v8, v66
	v_pk_fma_f16 v66, v71, v69, v174
	v_pk_fma_f16 v61, v71, v98, v61
	v_pk_fma_f16 v70, v71, v170, v175
	v_pk_fma_f16 v55, v71, v99, v55
	v_pk_fma_f16 v71, v72, v69, v176
	v_pk_fma_f16 v171, v72, v98, v177
	v_pk_fma_f16 v172, v72, v170, v178
	v_pk_fma_f16 v56, v72, v99, v56
	v_pk_fma_f16 v72, v73, v69, v179
	v_pk_fma_f16 v79, v73, v98, v79
	v_pk_fma_f16 v173, v73, v170, v180
	v_pk_fma_f16 v57, v73, v99, v57
	v_pk_fma_f16 v73, v74, v69, v181
	v_pk_fma_f16 v174, v74, v98, v182
	v_pk_fma_f16 v175, v74, v170, v183
	v_pk_fma_f16 v58, v74, v99, v58
	v_pk_fma_f16 v74, v75, v69, v184
	v_pk_fma_f16 v176, v75, v98, v185
	v_pk_fma_f16 v177, v75, v170, v186
	v_pk_fma_f16 v63, v75, v99, v63
	v_pk_fma_f16 v67, v76, v69, v67
	v_pk_fma_f16 v75, v76, v98, v187
	v_pk_fma_f16 v178, v76, v170, v188
	v_pk_fma_f16 v64, v76, v99, v64
	;; [unrolled: 36-line block ×3, first 2 shown]
	v_pk_fma_f16 v5, v87, v69, v5
	v_pk_fma_f16 v6, v87, v76, v6
	;; [unrolled: 1-line block ×6, first 2 shown]
	v_mul_u32_u24_sdwa v69, v102, v47 dst_sel:DWORD dst_unused:UNUSED_PAD src0_sel:WORD_0 src1_sel:DWORD
	v_mul_u32_u24_sdwa v76, v102, v47 dst_sel:DWORD dst_unused:UNUSED_PAD src0_sel:WORD_1 src1_sel:DWORD
	v_mul_u32_u24_sdwa v77, v103, v47 dst_sel:DWORD dst_unused:UNUSED_PAD src0_sel:WORD_0 src1_sel:DWORD
	v_mul_u32_u24_sdwa v86, v103, v47 dst_sel:DWORD dst_unused:UNUSED_PAD src0_sel:WORD_1 src1_sel:DWORD
	v_pk_fma_f16 v60, v87, v98, v60
	v_pk_fma_f16 v8, v88, v98, v8
	;; [unrolled: 1-line block ×16, first 2 shown]
	v_mul_u32_u24_sdwa v77, v105, v47 dst_sel:DWORD dst_unused:UNUSED_PAD src0_sel:WORD_0 src1_sel:DWORD
	v_mul_u32_u24_sdwa v90, v105, v47 dst_sel:DWORD dst_unused:UNUSED_PAD src0_sel:WORD_1 src1_sel:DWORD
	v_pk_fma_f16 v71, v91, v69, v71
	v_pk_fma_f16 v78, v91, v76, v78
	;; [unrolled: 1-line block ×17, first 2 shown]
	v_mul_u32_u24_sdwa v69, v104, v47 dst_sel:DWORD dst_unused:UNUSED_PAD src0_sel:WORD_0 src1_sel:DWORD
	v_mul_u32_u24_sdwa v76, v104, v47 dst_sel:DWORD dst_unused:UNUSED_PAD src0_sel:WORD_1 src1_sel:DWORD
	v_pk_fma_f16 v8, v97, v86, v8
	v_pk_fma_f16 v55, v106, v90, v55
	;; [unrolled: 1-line block ×7, first 2 shown]
	v_mul_u32_u24_sdwa v88, v139, v47 dst_sel:DWORD dst_unused:UNUSED_PAD src0_sel:WORD_1 src1_sel:DWORD
	v_pk_fma_f16 v66, v106, v69, v66
	v_pk_fma_f16 v61, v106, v76, v61
	;; [unrolled: 1-line block ×19, first 2 shown]
	v_mul_u32_u24_sdwa v69, v138, v47 dst_sel:DWORD dst_unused:UNUSED_PAD src0_sel:WORD_0 src1_sel:DWORD
	v_mul_u32_u24_sdwa v76, v138, v47 dst_sel:DWORD dst_unused:UNUSED_PAD src0_sel:WORD_1 src1_sel:DWORD
	v_pk_fma_f16 v8, v113, v90, v8
	v_pk_fma_f16 v55, v114, v88, v55
	v_pk_fma_f16 v56, v115, v88, v56
	v_pk_fma_f16 v57, v116, v88, v57
	v_pk_fma_f16 v58, v117, v88, v58
	v_mul_u32_u24_sdwa v90, v141, v47 dst_sel:DWORD dst_unused:UNUSED_PAD src0_sel:WORD_1 src1_sel:DWORD
	v_pk_fma_f16 v66, v114, v69, v66
	v_pk_fma_f16 v61, v114, v76, v61
	;; [unrolled: 1-line block ×19, first 2 shown]
	v_mul_u32_u24_sdwa v69, v140, v47 dst_sel:DWORD dst_unused:UNUSED_PAD src0_sel:WORD_0 src1_sel:DWORD
	v_mul_u32_u24_sdwa v76, v140, v47 dst_sel:DWORD dst_unused:UNUSED_PAD src0_sel:WORD_1 src1_sel:DWORD
	v_pk_fma_f16 v8, v121, v88, v8
	v_pk_fma_f16 v55, v122, v90, v55
	;; [unrolled: 1-line block ×5, first 2 shown]
	v_mul_u32_u24_sdwa v88, v143, v47 dst_sel:DWORD dst_unused:UNUSED_PAD src0_sel:WORD_1 src1_sel:DWORD
	v_pk_fma_f16 v66, v122, v69, v66
	v_pk_fma_f16 v61, v122, v76, v61
	;; [unrolled: 1-line block ×17, first 2 shown]
	v_mul_u32_u24_sdwa v69, v142, v47 dst_sel:DWORD dst_unused:UNUSED_PAD src0_sel:WORD_0 src1_sel:DWORD
	v_mul_u32_u24_sdwa v76, v142, v47 dst_sel:DWORD dst_unused:UNUSED_PAD src0_sel:WORD_1 src1_sel:DWORD
	v_pk_fma_f16 v55, v130, v88, v55
	v_pk_fma_f16 v56, v131, v88, v56
	;; [unrolled: 1-line block ×4, first 2 shown]
	v_mul_u32_u24_sdwa v92, v145, v47 dst_sel:DWORD dst_unused:UNUSED_PAD src0_sel:WORD_1 src1_sel:DWORD
	v_pk_fma_f16 v70, v106, v77, v70
	v_pk_fma_f16 v81, v107, v77, v81
	;; [unrolled: 1-line block ×6, first 2 shown]
	v_mul_u32_u24_sdwa v77, v139, v47 dst_sel:DWORD dst_unused:UNUSED_PAD src0_sel:WORD_0 src1_sel:DWORD
	v_pk_fma_f16 v64, v127, v90, v64
	v_pk_fma_f16 v60, v128, v90, v60
	;; [unrolled: 1-line block ×13, first 2 shown]
	v_mul_u32_u24_sdwa v76, v144, v47 dst_sel:DWORD dst_unused:UNUSED_PAD src0_sel:WORD_0 src1_sel:DWORD
	v_pk_fma_f16 v94, v146, v92, v55
	v_pk_fma_f16 v97, v147, v92, v56
	;; [unrolled: 1-line block ×4, first 2 shown]
	s_waitcnt vmcnt(3)
	ds_write_b128 v42, v[154:157]
	s_waitcnt vmcnt(2)
	ds_write_b128 v43, v[158:161]
	;; [unrolled: 2-line block ×4, first 2 shown]
	s_waitcnt lgkmcnt(0)
	s_barrier
	buffer_gl0_inv
	ds_read_b128 v[55:58], v41 offset:384
	v_pk_fma_f16 v70, v114, v77, v70
	v_pk_fma_f16 v81, v115, v77, v81
	;; [unrolled: 1-line block ×8, first 2 shown]
	v_mul_u32_u24_sdwa v77, v141, v47 dst_sel:DWORD dst_unused:UNUSED_PAD src0_sel:WORD_0 src1_sel:DWORD
	v_pk_fma_f16 v71, v131, v69, v71
	v_pk_fma_f16 v72, v132, v69, v72
	;; [unrolled: 1-line block ×12, first 2 shown]
	ds_read2_b64 v[63:66], v62 offset1:32
	v_pk_fma_f16 v70, v122, v77, v70
	v_pk_fma_f16 v81, v123, v77, v81
	;; [unrolled: 1-line block ×8, first 2 shown]
	v_mul_u32_u24_sdwa v77, v143, v47 dst_sel:DWORD dst_unused:UNUSED_PAD src0_sel:WORD_0 src1_sel:DWORD
	v_mul_u32_u24_sdwa v91, v145, v47 dst_sel:DWORD dst_unused:UNUSED_PAD src0_sel:WORD_0 src1_sel:DWORD
	v_pk_fma_f16 v95, v147, v76, v71
	v_pk_fma_f16 v98, v148, v76, v72
	;; [unrolled: 1-line block ×11, first 2 shown]
	v_mul_u32_u24_sdwa v77, v144, v47 dst_sel:DWORD dst_unused:UNUSED_PAD src0_sel:WORD_1 src1_sel:DWORD
	v_pk_fma_f16 v93, v146, v91, v70
	v_pk_fma_f16 v81, v147, v91, v81
	;; [unrolled: 1-line block ×8, first 2 shown]
	s_waitcnt lgkmcnt(1)
	v_mul_u32_u24_sdwa v110, v55, v47 dst_sel:DWORD dst_unused:UNUSED_PAD src0_sel:WORD_0 src1_sel:DWORD
	v_mul_u32_u24_sdwa v55, v55, v47 dst_sel:DWORD dst_unused:UNUSED_PAD src0_sel:WORD_1 src1_sel:DWORD
	v_mul_u32_u24_sdwa v111, v56, v47 dst_sel:DWORD dst_unused:UNUSED_PAD src0_sel:WORD_0 src1_sel:DWORD
	v_mul_u32_u24_sdwa v56, v56, v47 dst_sel:DWORD dst_unused:UNUSED_PAD src0_sel:WORD_1 src1_sel:DWORD
	v_pk_fma_f16 v102, v150, v76, v74
	v_pk_fma_f16 v87, v150, v91, v87
	;; [unrolled: 1-line block ×7, first 2 shown]
	ds_read2_b64 v[67:70], v62 offset0:64 offset1:96
	ds_read_b128 v[71:74], v41 offset:400
	v_pk_fma_f16 v84, v150, v77, v84
	v_pk_fma_f16 v105, v151, v77, v75
	;; [unrolled: 1-line block ×8, first 2 shown]
	ds_read_b128 v[75:78], v41 offset:416
	ds_read_b128 v[5:8], v41 offset:432
	s_waitcnt lgkmcnt(4)
	v_pk_fma_f16 v88, v63, v110, v88
	v_pk_fma_f16 v61, v63, v55, v61
	;; [unrolled: 1-line block ×16, first 2 shown]
	ds_read2_b64 v[63:66], v62 offset0:128 offset1:160
	s_waitcnt lgkmcnt(4)
	v_pk_fma_f16 v102, v67, v110, v102
	v_pk_fma_f16 v115, v67, v55, v84
	;; [unrolled: 1-line block ×14, first 2 shown]
	ds_read2_b64 v[81:84], v62 offset0:192 offset1:224
	v_mul_u32_u24_sdwa v107, v57, v47 dst_sel:DWORD dst_unused:UNUSED_PAD src0_sel:WORD_0 src1_sel:DWORD
	v_mul_u32_u24_sdwa v108, v57, v47 dst_sel:DWORD dst_unused:UNUSED_PAD src0_sel:WORD_1 src1_sel:DWORD
	v_mul_u32_u24_sdwa v109, v58, v47 dst_sel:DWORD dst_unused:UNUSED_PAD src0_sel:WORD_0 src1_sel:DWORD
	v_mul_u32_u24_sdwa v110, v58, v47 dst_sel:DWORD dst_unused:UNUSED_PAD src0_sel:WORD_1 src1_sel:DWORD
	v_pk_fma_f16 v91, v70, v111, v91
	v_pk_fma_f16 v70, v70, v56, v92
	s_waitcnt lgkmcnt(1)
	v_pk_fma_f16 v88, v63, v107, v88
	v_pk_fma_f16 v61, v63, v108, v61
	;; [unrolled: 1-line block ×16, first 2 shown]
	ds_read2_b64 v[55:58], v52 offset1:32
	ds_read2_b64 v[63:66], v52 offset0:64 offset1:96
	s_waitcnt lgkmcnt(2)
	v_pk_fma_f16 v102, v81, v107, v102
	v_pk_fma_f16 v113, v81, v108, v115
	;; [unrolled: 1-line block ×13, first 2 shown]
	v_mul_u32_u24_sdwa v104, v71, v47 dst_sel:DWORD dst_unused:UNUSED_PAD src0_sel:WORD_0 src1_sel:DWORD
	v_mul_u32_u24_sdwa v71, v71, v47 dst_sel:DWORD dst_unused:UNUSED_PAD src0_sel:WORD_1 src1_sel:DWORD
	v_mul_u32_u24_sdwa v105, v72, v47 dst_sel:DWORD dst_unused:UNUSED_PAD src0_sel:WORD_0 src1_sel:DWORD
	v_mul_u32_u24_sdwa v72, v72, v47 dst_sel:DWORD dst_unused:UNUSED_PAD src0_sel:WORD_1 src1_sel:DWORD
	v_pk_fma_f16 v83, v84, v108, v106
	v_pk_fma_f16 v91, v84, v109, v91
	;; [unrolled: 1-line block ×3, first 2 shown]
	s_waitcnt lgkmcnt(1)
	v_pk_fma_f16 v88, v55, v104, v88
	v_pk_fma_f16 v61, v55, v71, v61
	;; [unrolled: 1-line block ×16, first 2 shown]
	s_waitcnt lgkmcnt(0)
	v_pk_fma_f16 v102, v63, v104, v102
	v_pk_fma_f16 v108, v63, v71, v113
	ds_read2_b64 v[55:58], v52 offset0:128 offset1:160
	v_pk_fma_f16 v87, v63, v105, v87
	v_pk_fma_f16 v63, v63, v72, v67
	;; [unrolled: 1-line block ×11, first 2 shown]
	ds_read2_b64 v[67:70], v52 offset0:192 offset1:224
	v_pk_fma_f16 v71, v66, v71, v83
	v_pk_fma_f16 v83, v66, v105, v91
	v_mul_u32_u24_sdwa v91, v73, v47 dst_sel:DWORD dst_unused:UNUSED_PAD src0_sel:WORD_0 src1_sel:DWORD
	v_mul_u32_u24_sdwa v73, v73, v47 dst_sel:DWORD dst_unused:UNUSED_PAD src0_sel:WORD_1 src1_sel:DWORD
	v_mul_u32_u24_sdwa v104, v74, v47 dst_sel:DWORD dst_unused:UNUSED_PAD src0_sel:WORD_0 src1_sel:DWORD
	v_mul_u32_u24_sdwa v74, v74, v47 dst_sel:DWORD dst_unused:UNUSED_PAD src0_sel:WORD_1 src1_sel:DWORD
	v_pk_fma_f16 v72, v66, v72, v84
	s_waitcnt lgkmcnt(1)
	v_pk_fma_f16 v84, v55, v91, v88
	v_pk_fma_f16 v61, v55, v73, v61
	;; [unrolled: 1-line block ×16, first 2 shown]
	s_waitcnt lgkmcnt(0)
	v_pk_fma_f16 v102, v67, v91, v102
	v_pk_fma_f16 v106, v67, v73, v108
	ds_read2_b64 v[55:58], v53 offset1:32
	v_pk_fma_f16 v87, v67, v104, v87
	v_pk_fma_f16 v67, v67, v74, v63
	;; [unrolled: 1-line block ×11, first 2 shown]
	ds_read2_b64 v[63:66], v53 offset0:64 offset1:96
	v_pk_fma_f16 v71, v70, v73, v71
	v_pk_fma_f16 v73, v70, v104, v83
	v_mul_u32_u24_sdwa v83, v75, v47 dst_sel:DWORD dst_unused:UNUSED_PAD src0_sel:WORD_0 src1_sel:DWORD
	v_mul_u32_u24_sdwa v75, v75, v47 dst_sel:DWORD dst_unused:UNUSED_PAD src0_sel:WORD_1 src1_sel:DWORD
	v_mul_u32_u24_sdwa v91, v76, v47 dst_sel:DWORD dst_unused:UNUSED_PAD src0_sel:WORD_0 src1_sel:DWORD
	v_mul_u32_u24_sdwa v76, v76, v47 dst_sel:DWORD dst_unused:UNUSED_PAD src0_sel:WORD_1 src1_sel:DWORD
	v_pk_fma_f16 v72, v70, v74, v72
	s_waitcnt lgkmcnt(1)
	v_pk_fma_f16 v74, v55, v83, v84
	v_pk_fma_f16 v61, v55, v75, v61
	;; [unrolled: 1-line block ×16, first 2 shown]
	s_waitcnt lgkmcnt(0)
	v_pk_fma_f16 v102, v63, v83, v102
	v_pk_fma_f16 v104, v63, v75, v106
	ds_read2_b64 v[55:58], v53 offset0:128 offset1:160
	v_pk_fma_f16 v87, v63, v91, v87
	v_pk_fma_f16 v63, v63, v76, v67
	;; [unrolled: 1-line block ×11, first 2 shown]
	ds_read2_b64 v[67:70], v53 offset0:192 offset1:224
	v_pk_fma_f16 v71, v66, v75, v71
	v_mul_u32_u24_sdwa v75, v77, v47 dst_sel:DWORD dst_unused:UNUSED_PAD src0_sel:WORD_0 src1_sel:DWORD
	v_mul_u32_u24_sdwa v77, v77, v47 dst_sel:DWORD dst_unused:UNUSED_PAD src0_sel:WORD_1 src1_sel:DWORD
	v_mul_u32_u24_sdwa v83, v78, v47 dst_sel:DWORD dst_unused:UNUSED_PAD src0_sel:WORD_0 src1_sel:DWORD
	v_mul_u32_u24_sdwa v78, v78, v47 dst_sel:DWORD dst_unused:UNUSED_PAD src0_sel:WORD_1 src1_sel:DWORD
	v_pk_fma_f16 v73, v66, v91, v73
	v_pk_fma_f16 v72, v66, v76, v72
	s_waitcnt lgkmcnt(1)
	v_pk_fma_f16 v74, v55, v75, v74
	v_pk_fma_f16 v61, v55, v77, v61
	;; [unrolled: 1-line block ×16, first 2 shown]
	s_waitcnt lgkmcnt(0)
	v_pk_fma_f16 v100, v67, v75, v102
	v_pk_fma_f16 v101, v67, v77, v104
	ds_read2_b64 v[55:58], v54 offset1:32
	v_pk_fma_f16 v87, v67, v83, v87
	v_pk_fma_f16 v67, v67, v78, v63
	;; [unrolled: 1-line block ×7, first 2 shown]
	ds_read2_b64 v[63:66], v54 offset0:64 offset1:96
	s_or_b32 s0, s8, 64
	v_mul_u32_u24_sdwa v177, v5, v47 dst_sel:DWORD dst_unused:UNUSED_PAD src0_sel:WORD_0 src1_sel:DWORD
	s_mul_hi_i32 s25, s0, s9
	s_mul_i32 s24, s0, s9
	v_mul_u32_u24_sdwa v178, v5, v47 dst_sel:DWORD dst_unused:UNUSED_PAD src0_sel:WORD_1 src1_sel:DWORD
	s_lshl_b64 s[24:25], s[24:25], 2
	v_pk_fma_f16 v172, v69, v83, v59
	s_add_u32 s0, s12, s24
	s_addc_u32 s19, s13, s25
	v_add_co_u32 v5, vcc_lo, s0, v27
	v_mul_u32_u24_sdwa v179, v6, v47 dst_sel:DWORD dst_unused:UNUSED_PAD src0_sel:WORD_0 src1_sel:DWORD
	v_mul_u32_u24_sdwa v180, v6, v47 dst_sel:DWORD dst_unused:UNUSED_PAD src0_sel:WORD_1 src1_sel:DWORD
	v_add_co_ci_u32_e64 v6, null, s19, v28, vcc_lo
	v_add_co_u32 v59, vcc_lo, s0, v29
	v_pk_fma_f16 v173, v69, v78, v60
	v_add_co_ci_u32_e64 v60, null, s19, v30, vcc_lo
	v_add_co_u32 v5, vcc_lo, v5, v89
	v_add_co_ci_u32_e64 v6, null, 0, v6, vcc_lo
	v_add_co_u32 v59, vcc_lo, v59, v89
	v_add_co_ci_u32_e64 v60, null, 0, v60, vcc_lo
	v_pk_fma_f16 v170, v69, v75, v82
	v_pk_fma_f16 v171, v69, v77, v90
	;; [unrolled: 1-line block ×5, first 2 shown]
	s_waitcnt lgkmcnt(1)
	v_pk_fma_f16 v182, v55, v177, v74
	v_pk_fma_f16 v61, v55, v178, v61
	;; [unrolled: 1-line block ×16, first 2 shown]
	s_waitcnt lgkmcnt(0)
	v_pk_fma_f16 v196, v63, v177, v100
	v_pk_fma_f16 v197, v63, v178, v101
	v_pk_fma_f16 v198, v63, v179, v87
	v_pk_fma_f16 v63, v63, v180, v67
	v_pk_fma_f16 v199, v64, v177, v81
	v_pk_fma_f16 v200, v64, v178, v102
	v_pk_fma_f16 v201, v64, v179, v85
	v_pk_fma_f16 v64, v64, v180, v68
	ds_read2_b64 v[55:58], v54 offset0:128 offset1:160
	ds_read2_b64 v[67:70], v54 offset0:192 offset1:224
	ds_read2_b64 v[71:74], v51 offset1:32
	ds_read2_b64 v[75:78], v51 offset0:64 offset1:96
	ds_read2_b64 v[81:84], v51 offset0:128 offset1:160
	;; [unrolled: 1-line block ×3, first 2 shown]
	ds_read2_b64 v[90:93], v50 offset1:32
	ds_read2_b64 v[94:97], v50 offset0:64 offset1:96
	ds_read_b128 v[98:101], v41 offset:448
	ds_read_b128 v[102:105], v41 offset:464
	ds_read2_b64 v[106:109], v50 offset0:128 offset1:160
	ds_read2_b64 v[110:113], v50 offset0:192 offset1:224
	ds_read2_b64 v[114:117], v49 offset1:32
	ds_read2_b64 v[118:121], v49 offset0:64 offset1:96
	ds_read2_b64 v[122:125], v49 offset0:128 offset1:160
	;; [unrolled: 1-line block ×3, first 2 shown]
	ds_read2_b64 v[130:133], v48 offset1:32
	ds_read2_b64 v[134:137], v48 offset0:64 offset1:96
	ds_read_b128 v[138:141], v41 offset:480
	ds_read_b128 v[142:145], v41 offset:496
	ds_read2_b64 v[146:149], v48 offset0:128 offset1:160
	ds_read2_b64 v[150:153], v48 offset0:192 offset1:224
	s_waitcnt lgkmcnt(0)
	s_barrier
	buffer_gl0_inv
	s_clause 0x3
	global_load_dwordx4 v[154:157], v[5:6], off
	global_load_dwordx4 v[158:161], v[5:6], off offset:512
	global_load_dwordx4 v[162:165], v[59:60], off
	global_load_dwordx4 v[166:169], v[59:60], off offset:512
	v_pk_fma_f16 v5, v65, v177, v170
	v_pk_fma_f16 v6, v65, v178, v171
	v_pk_fma_f16 v59, v65, v179, v172
	v_pk_fma_f16 v60, v65, v180, v173
	v_pk_fma_f16 v65, v66, v177, v174
	v_pk_fma_f16 v170, v66, v178, v175
	v_pk_fma_f16 v171, v66, v179, v176
	v_mul_u32_u24_sdwa v172, v7, v47 dst_sel:DWORD dst_unused:UNUSED_PAD src0_sel:WORD_0 src1_sel:DWORD
	v_mul_u32_u24_sdwa v7, v7, v47 dst_sel:DWORD dst_unused:UNUSED_PAD src0_sel:WORD_1 src1_sel:DWORD
	v_mul_u32_u24_sdwa v173, v8, v47 dst_sel:DWORD dst_unused:UNUSED_PAD src0_sel:WORD_0 src1_sel:DWORD
	v_mul_u32_u24_sdwa v8, v8, v47 dst_sel:DWORD dst_unused:UNUSED_PAD src0_sel:WORD_1 src1_sel:DWORD
	v_pk_fma_f16 v66, v66, v180, v181
	v_pk_fma_f16 v174, v55, v172, v182
	v_pk_fma_f16 v61, v55, v7, v61
	v_pk_fma_f16 v175, v55, v173, v183
	v_pk_fma_f16 v55, v55, v8, v184
	v_pk_fma_f16 v176, v56, v172, v185
	v_pk_fma_f16 v177, v56, v7, v186
	v_pk_fma_f16 v178, v56, v173, v187
	v_pk_fma_f16 v56, v56, v8, v188
	v_pk_fma_f16 v179, v57, v172, v189
	v_pk_fma_f16 v79, v57, v7, v79
	v_pk_fma_f16 v180, v57, v173, v190
	v_pk_fma_f16 v57, v57, v8, v191
	v_pk_fma_f16 v181, v58, v172, v192
	v_pk_fma_f16 v182, v58, v7, v193
	v_pk_fma_f16 v183, v58, v173, v194
	v_pk_fma_f16 v58, v58, v8, v195
	v_pk_fma_f16 v184, v67, v172, v196
	v_pk_fma_f16 v185, v67, v7, v197
	v_pk_fma_f16 v186, v67, v173, v198
	v_pk_fma_f16 v63, v67, v8, v63
	v_pk_fma_f16 v67, v68, v172, v199
	v_pk_fma_f16 v187, v68, v7, v200
	v_pk_fma_f16 v188, v68, v173, v201
	v_pk_fma_f16 v64, v68, v8, v64
	v_pk_fma_f16 v5, v69, v172, v5
	v_pk_fma_f16 v6, v69, v7, v6
	v_pk_fma_f16 v59, v69, v173, v59
	v_pk_fma_f16 v60, v69, v8, v60
	v_pk_fma_f16 v65, v70, v172, v65
	v_pk_fma_f16 v7, v70, v7, v170
	v_pk_fma_f16 v68, v70, v173, v171
	v_mul_u32_u24_sdwa v69, v98, v47 dst_sel:DWORD dst_unused:UNUSED_PAD src0_sel:WORD_0 src1_sel:DWORD
	v_mul_u32_u24_sdwa v98, v98, v47 dst_sel:DWORD dst_unused:UNUSED_PAD src0_sel:WORD_1 src1_sel:DWORD
	v_mul_u32_u24_sdwa v170, v99, v47 dst_sel:DWORD dst_unused:UNUSED_PAD src0_sel:WORD_0 src1_sel:DWORD
	v_mul_u32_u24_sdwa v99, v99, v47 dst_sel:DWORD dst_unused:UNUSED_PAD src0_sel:WORD_1 src1_sel:DWORD
	v_pk_fma_f16 v8, v70, v8, v66
	v_pk_fma_f16 v66, v71, v69, v174
	v_pk_fma_f16 v61, v71, v98, v61
	v_pk_fma_f16 v70, v71, v170, v175
	v_pk_fma_f16 v55, v71, v99, v55
	v_pk_fma_f16 v71, v72, v69, v176
	v_pk_fma_f16 v171, v72, v98, v177
	v_pk_fma_f16 v172, v72, v170, v178
	v_pk_fma_f16 v56, v72, v99, v56
	v_pk_fma_f16 v72, v73, v69, v179
	v_pk_fma_f16 v79, v73, v98, v79
	v_pk_fma_f16 v173, v73, v170, v180
	v_pk_fma_f16 v57, v73, v99, v57
	v_pk_fma_f16 v73, v74, v69, v181
	v_pk_fma_f16 v174, v74, v98, v182
	v_pk_fma_f16 v175, v74, v170, v183
	v_pk_fma_f16 v58, v74, v99, v58
	v_pk_fma_f16 v74, v75, v69, v184
	v_pk_fma_f16 v176, v75, v98, v185
	v_pk_fma_f16 v177, v75, v170, v186
	v_pk_fma_f16 v63, v75, v99, v63
	v_pk_fma_f16 v67, v76, v69, v67
	v_pk_fma_f16 v75, v76, v98, v187
	v_pk_fma_f16 v178, v76, v170, v188
	v_pk_fma_f16 v64, v76, v99, v64
	;; [unrolled: 36-line block ×3, first 2 shown]
	v_pk_fma_f16 v5, v87, v69, v5
	v_pk_fma_f16 v6, v87, v76, v6
	;; [unrolled: 1-line block ×6, first 2 shown]
	v_mul_u32_u24_sdwa v69, v102, v47 dst_sel:DWORD dst_unused:UNUSED_PAD src0_sel:WORD_0 src1_sel:DWORD
	v_mul_u32_u24_sdwa v76, v102, v47 dst_sel:DWORD dst_unused:UNUSED_PAD src0_sel:WORD_1 src1_sel:DWORD
	v_mul_u32_u24_sdwa v77, v103, v47 dst_sel:DWORD dst_unused:UNUSED_PAD src0_sel:WORD_0 src1_sel:DWORD
	v_mul_u32_u24_sdwa v86, v103, v47 dst_sel:DWORD dst_unused:UNUSED_PAD src0_sel:WORD_1 src1_sel:DWORD
	v_pk_fma_f16 v60, v87, v98, v60
	v_pk_fma_f16 v8, v88, v98, v8
	;; [unrolled: 1-line block ×16, first 2 shown]
	v_mul_u32_u24_sdwa v77, v105, v47 dst_sel:DWORD dst_unused:UNUSED_PAD src0_sel:WORD_0 src1_sel:DWORD
	v_mul_u32_u24_sdwa v90, v105, v47 dst_sel:DWORD dst_unused:UNUSED_PAD src0_sel:WORD_1 src1_sel:DWORD
	v_pk_fma_f16 v71, v91, v69, v71
	v_pk_fma_f16 v78, v91, v76, v78
	;; [unrolled: 1-line block ×17, first 2 shown]
	v_mul_u32_u24_sdwa v69, v104, v47 dst_sel:DWORD dst_unused:UNUSED_PAD src0_sel:WORD_0 src1_sel:DWORD
	v_mul_u32_u24_sdwa v76, v104, v47 dst_sel:DWORD dst_unused:UNUSED_PAD src0_sel:WORD_1 src1_sel:DWORD
	v_pk_fma_f16 v8, v97, v86, v8
	v_pk_fma_f16 v55, v106, v90, v55
	;; [unrolled: 1-line block ×7, first 2 shown]
	v_mul_u32_u24_sdwa v88, v139, v47 dst_sel:DWORD dst_unused:UNUSED_PAD src0_sel:WORD_1 src1_sel:DWORD
	v_pk_fma_f16 v66, v106, v69, v66
	v_pk_fma_f16 v61, v106, v76, v61
	;; [unrolled: 1-line block ×19, first 2 shown]
	v_mul_u32_u24_sdwa v69, v138, v47 dst_sel:DWORD dst_unused:UNUSED_PAD src0_sel:WORD_0 src1_sel:DWORD
	v_mul_u32_u24_sdwa v76, v138, v47 dst_sel:DWORD dst_unused:UNUSED_PAD src0_sel:WORD_1 src1_sel:DWORD
	v_pk_fma_f16 v8, v113, v90, v8
	v_pk_fma_f16 v55, v114, v88, v55
	;; [unrolled: 1-line block ×5, first 2 shown]
	v_mul_u32_u24_sdwa v90, v141, v47 dst_sel:DWORD dst_unused:UNUSED_PAD src0_sel:WORD_1 src1_sel:DWORD
	v_pk_fma_f16 v66, v114, v69, v66
	v_pk_fma_f16 v61, v114, v76, v61
	;; [unrolled: 1-line block ×19, first 2 shown]
	v_mul_u32_u24_sdwa v69, v140, v47 dst_sel:DWORD dst_unused:UNUSED_PAD src0_sel:WORD_0 src1_sel:DWORD
	v_mul_u32_u24_sdwa v76, v140, v47 dst_sel:DWORD dst_unused:UNUSED_PAD src0_sel:WORD_1 src1_sel:DWORD
	v_pk_fma_f16 v8, v121, v88, v8
	v_pk_fma_f16 v55, v122, v90, v55
	;; [unrolled: 1-line block ×5, first 2 shown]
	v_mul_u32_u24_sdwa v88, v143, v47 dst_sel:DWORD dst_unused:UNUSED_PAD src0_sel:WORD_1 src1_sel:DWORD
	v_pk_fma_f16 v66, v122, v69, v66
	v_pk_fma_f16 v61, v122, v76, v61
	;; [unrolled: 1-line block ×17, first 2 shown]
	v_mul_u32_u24_sdwa v69, v142, v47 dst_sel:DWORD dst_unused:UNUSED_PAD src0_sel:WORD_0 src1_sel:DWORD
	v_mul_u32_u24_sdwa v76, v142, v47 dst_sel:DWORD dst_unused:UNUSED_PAD src0_sel:WORD_1 src1_sel:DWORD
	v_pk_fma_f16 v55, v130, v88, v55
	v_pk_fma_f16 v56, v131, v88, v56
	;; [unrolled: 1-line block ×4, first 2 shown]
	v_mul_u32_u24_sdwa v92, v145, v47 dst_sel:DWORD dst_unused:UNUSED_PAD src0_sel:WORD_1 src1_sel:DWORD
	v_pk_fma_f16 v70, v106, v77, v70
	v_pk_fma_f16 v81, v107, v77, v81
	;; [unrolled: 1-line block ×6, first 2 shown]
	v_mul_u32_u24_sdwa v77, v139, v47 dst_sel:DWORD dst_unused:UNUSED_PAD src0_sel:WORD_0 src1_sel:DWORD
	v_pk_fma_f16 v64, v127, v90, v64
	v_pk_fma_f16 v60, v128, v90, v60
	;; [unrolled: 1-line block ×13, first 2 shown]
	v_mul_u32_u24_sdwa v76, v144, v47 dst_sel:DWORD dst_unused:UNUSED_PAD src0_sel:WORD_0 src1_sel:DWORD
	v_pk_fma_f16 v94, v146, v92, v55
	v_pk_fma_f16 v97, v147, v92, v56
	;; [unrolled: 1-line block ×4, first 2 shown]
	s_waitcnt vmcnt(3)
	ds_write_b128 v42, v[154:157]
	s_waitcnt vmcnt(2)
	ds_write_b128 v43, v[158:161]
	;; [unrolled: 2-line block ×4, first 2 shown]
	s_waitcnt lgkmcnt(0)
	s_barrier
	buffer_gl0_inv
	ds_read_b128 v[55:58], v41 offset:512
	v_pk_fma_f16 v70, v114, v77, v70
	v_pk_fma_f16 v81, v115, v77, v81
	;; [unrolled: 1-line block ×8, first 2 shown]
	v_mul_u32_u24_sdwa v77, v141, v47 dst_sel:DWORD dst_unused:UNUSED_PAD src0_sel:WORD_0 src1_sel:DWORD
	v_pk_fma_f16 v71, v131, v69, v71
	v_pk_fma_f16 v72, v132, v69, v72
	;; [unrolled: 1-line block ×12, first 2 shown]
	ds_read2_b64 v[63:66], v62 offset1:32
	v_pk_fma_f16 v70, v122, v77, v70
	v_pk_fma_f16 v81, v123, v77, v81
	;; [unrolled: 1-line block ×8, first 2 shown]
	v_mul_u32_u24_sdwa v77, v143, v47 dst_sel:DWORD dst_unused:UNUSED_PAD src0_sel:WORD_0 src1_sel:DWORD
	v_mul_u32_u24_sdwa v91, v145, v47 dst_sel:DWORD dst_unused:UNUSED_PAD src0_sel:WORD_0 src1_sel:DWORD
	v_pk_fma_f16 v95, v147, v76, v71
	v_pk_fma_f16 v98, v148, v76, v72
	;; [unrolled: 1-line block ×11, first 2 shown]
	v_mul_u32_u24_sdwa v77, v144, v47 dst_sel:DWORD dst_unused:UNUSED_PAD src0_sel:WORD_1 src1_sel:DWORD
	v_pk_fma_f16 v93, v146, v91, v70
	v_pk_fma_f16 v81, v147, v91, v81
	;; [unrolled: 1-line block ×8, first 2 shown]
	s_waitcnt lgkmcnt(1)
	v_mul_u32_u24_sdwa v110, v55, v47 dst_sel:DWORD dst_unused:UNUSED_PAD src0_sel:WORD_0 src1_sel:DWORD
	v_mul_u32_u24_sdwa v55, v55, v47 dst_sel:DWORD dst_unused:UNUSED_PAD src0_sel:WORD_1 src1_sel:DWORD
	v_mul_u32_u24_sdwa v111, v56, v47 dst_sel:DWORD dst_unused:UNUSED_PAD src0_sel:WORD_0 src1_sel:DWORD
	v_mul_u32_u24_sdwa v56, v56, v47 dst_sel:DWORD dst_unused:UNUSED_PAD src0_sel:WORD_1 src1_sel:DWORD
	v_pk_fma_f16 v102, v150, v76, v74
	v_pk_fma_f16 v87, v150, v91, v87
	;; [unrolled: 1-line block ×7, first 2 shown]
	ds_read2_b64 v[67:70], v62 offset0:64 offset1:96
	ds_read_b128 v[71:74], v41 offset:528
	v_pk_fma_f16 v84, v150, v77, v84
	v_pk_fma_f16 v105, v151, v77, v75
	;; [unrolled: 1-line block ×8, first 2 shown]
	ds_read_b128 v[75:78], v41 offset:544
	ds_read_b128 v[5:8], v41 offset:560
	s_waitcnt lgkmcnt(4)
	v_pk_fma_f16 v88, v63, v110, v88
	v_pk_fma_f16 v61, v63, v55, v61
	;; [unrolled: 1-line block ×16, first 2 shown]
	ds_read2_b64 v[63:66], v62 offset0:128 offset1:160
	s_waitcnt lgkmcnt(4)
	v_pk_fma_f16 v102, v67, v110, v102
	v_pk_fma_f16 v115, v67, v55, v84
	v_pk_fma_f16 v87, v67, v111, v87
	v_pk_fma_f16 v67, v67, v56, v103
	v_pk_fma_f16 v103, v68, v110, v104
	v_pk_fma_f16 v104, v68, v55, v105
	v_pk_fma_f16 v85, v68, v111, v85
	v_pk_fma_f16 v68, v68, v56, v90
	v_pk_fma_f16 v90, v69, v110, v106
	v_pk_fma_f16 v105, v69, v55, v107
	v_pk_fma_f16 v59, v69, v111, v59
	v_pk_fma_f16 v60, v69, v56, v60
	v_pk_fma_f16 v69, v70, v110, v108
	v_pk_fma_f16 v106, v70, v55, v109
	ds_read2_b64 v[81:84], v62 offset0:192 offset1:224
	v_mul_u32_u24_sdwa v107, v57, v47 dst_sel:DWORD dst_unused:UNUSED_PAD src0_sel:WORD_0 src1_sel:DWORD
	v_mul_u32_u24_sdwa v108, v57, v47 dst_sel:DWORD dst_unused:UNUSED_PAD src0_sel:WORD_1 src1_sel:DWORD
	v_mul_u32_u24_sdwa v109, v58, v47 dst_sel:DWORD dst_unused:UNUSED_PAD src0_sel:WORD_0 src1_sel:DWORD
	v_mul_u32_u24_sdwa v110, v58, v47 dst_sel:DWORD dst_unused:UNUSED_PAD src0_sel:WORD_1 src1_sel:DWORD
	v_pk_fma_f16 v91, v70, v111, v91
	v_pk_fma_f16 v70, v70, v56, v92
	s_waitcnt lgkmcnt(1)
	v_pk_fma_f16 v88, v63, v107, v88
	v_pk_fma_f16 v61, v63, v108, v61
	;; [unrolled: 1-line block ×16, first 2 shown]
	ds_read2_b64 v[55:58], v52 offset1:32
	ds_read2_b64 v[63:66], v52 offset0:64 offset1:96
	s_waitcnt lgkmcnt(2)
	v_pk_fma_f16 v102, v81, v107, v102
	v_pk_fma_f16 v113, v81, v108, v115
	;; [unrolled: 1-line block ×13, first 2 shown]
	v_mul_u32_u24_sdwa v104, v71, v47 dst_sel:DWORD dst_unused:UNUSED_PAD src0_sel:WORD_0 src1_sel:DWORD
	v_mul_u32_u24_sdwa v71, v71, v47 dst_sel:DWORD dst_unused:UNUSED_PAD src0_sel:WORD_1 src1_sel:DWORD
	v_mul_u32_u24_sdwa v105, v72, v47 dst_sel:DWORD dst_unused:UNUSED_PAD src0_sel:WORD_0 src1_sel:DWORD
	v_mul_u32_u24_sdwa v72, v72, v47 dst_sel:DWORD dst_unused:UNUSED_PAD src0_sel:WORD_1 src1_sel:DWORD
	v_pk_fma_f16 v83, v84, v108, v106
	v_pk_fma_f16 v91, v84, v109, v91
	;; [unrolled: 1-line block ×3, first 2 shown]
	s_waitcnt lgkmcnt(1)
	v_pk_fma_f16 v88, v55, v104, v88
	v_pk_fma_f16 v61, v55, v71, v61
	;; [unrolled: 1-line block ×16, first 2 shown]
	s_waitcnt lgkmcnt(0)
	v_pk_fma_f16 v102, v63, v104, v102
	v_pk_fma_f16 v108, v63, v71, v113
	ds_read2_b64 v[55:58], v52 offset0:128 offset1:160
	v_pk_fma_f16 v87, v63, v105, v87
	v_pk_fma_f16 v63, v63, v72, v67
	;; [unrolled: 1-line block ×11, first 2 shown]
	ds_read2_b64 v[67:70], v52 offset0:192 offset1:224
	v_pk_fma_f16 v71, v66, v71, v83
	v_pk_fma_f16 v83, v66, v105, v91
	v_mul_u32_u24_sdwa v91, v73, v47 dst_sel:DWORD dst_unused:UNUSED_PAD src0_sel:WORD_0 src1_sel:DWORD
	v_mul_u32_u24_sdwa v73, v73, v47 dst_sel:DWORD dst_unused:UNUSED_PAD src0_sel:WORD_1 src1_sel:DWORD
	v_mul_u32_u24_sdwa v104, v74, v47 dst_sel:DWORD dst_unused:UNUSED_PAD src0_sel:WORD_0 src1_sel:DWORD
	v_mul_u32_u24_sdwa v74, v74, v47 dst_sel:DWORD dst_unused:UNUSED_PAD src0_sel:WORD_1 src1_sel:DWORD
	v_pk_fma_f16 v72, v66, v72, v84
	s_waitcnt lgkmcnt(1)
	v_pk_fma_f16 v84, v55, v91, v88
	v_pk_fma_f16 v61, v55, v73, v61
	;; [unrolled: 1-line block ×16, first 2 shown]
	s_waitcnt lgkmcnt(0)
	v_pk_fma_f16 v102, v67, v91, v102
	v_pk_fma_f16 v106, v67, v73, v108
	ds_read2_b64 v[55:58], v53 offset1:32
	v_pk_fma_f16 v87, v67, v104, v87
	v_pk_fma_f16 v67, v67, v74, v63
	;; [unrolled: 1-line block ×11, first 2 shown]
	ds_read2_b64 v[63:66], v53 offset0:64 offset1:96
	v_pk_fma_f16 v71, v70, v73, v71
	v_pk_fma_f16 v73, v70, v104, v83
	v_mul_u32_u24_sdwa v83, v75, v47 dst_sel:DWORD dst_unused:UNUSED_PAD src0_sel:WORD_0 src1_sel:DWORD
	v_mul_u32_u24_sdwa v75, v75, v47 dst_sel:DWORD dst_unused:UNUSED_PAD src0_sel:WORD_1 src1_sel:DWORD
	v_mul_u32_u24_sdwa v91, v76, v47 dst_sel:DWORD dst_unused:UNUSED_PAD src0_sel:WORD_0 src1_sel:DWORD
	v_mul_u32_u24_sdwa v76, v76, v47 dst_sel:DWORD dst_unused:UNUSED_PAD src0_sel:WORD_1 src1_sel:DWORD
	v_pk_fma_f16 v72, v70, v74, v72
	s_waitcnt lgkmcnt(1)
	v_pk_fma_f16 v74, v55, v83, v84
	v_pk_fma_f16 v61, v55, v75, v61
	;; [unrolled: 1-line block ×16, first 2 shown]
	s_waitcnt lgkmcnt(0)
	v_pk_fma_f16 v102, v63, v83, v102
	v_pk_fma_f16 v104, v63, v75, v106
	ds_read2_b64 v[55:58], v53 offset0:128 offset1:160
	v_pk_fma_f16 v87, v63, v91, v87
	v_pk_fma_f16 v63, v63, v76, v67
	;; [unrolled: 1-line block ×11, first 2 shown]
	ds_read2_b64 v[67:70], v53 offset0:192 offset1:224
	v_pk_fma_f16 v71, v66, v75, v71
	v_mul_u32_u24_sdwa v75, v77, v47 dst_sel:DWORD dst_unused:UNUSED_PAD src0_sel:WORD_0 src1_sel:DWORD
	v_mul_u32_u24_sdwa v77, v77, v47 dst_sel:DWORD dst_unused:UNUSED_PAD src0_sel:WORD_1 src1_sel:DWORD
	v_mul_u32_u24_sdwa v83, v78, v47 dst_sel:DWORD dst_unused:UNUSED_PAD src0_sel:WORD_0 src1_sel:DWORD
	v_mul_u32_u24_sdwa v78, v78, v47 dst_sel:DWORD dst_unused:UNUSED_PAD src0_sel:WORD_1 src1_sel:DWORD
	v_pk_fma_f16 v73, v66, v91, v73
	v_pk_fma_f16 v72, v66, v76, v72
	s_waitcnt lgkmcnt(1)
	v_pk_fma_f16 v74, v55, v75, v74
	v_pk_fma_f16 v61, v55, v77, v61
	;; [unrolled: 1-line block ×16, first 2 shown]
	s_waitcnt lgkmcnt(0)
	v_pk_fma_f16 v100, v67, v75, v102
	v_pk_fma_f16 v101, v67, v77, v104
	ds_read2_b64 v[55:58], v54 offset1:32
	v_pk_fma_f16 v87, v67, v83, v87
	v_pk_fma_f16 v67, v67, v78, v63
	;; [unrolled: 1-line block ×7, first 2 shown]
	ds_read2_b64 v[63:66], v54 offset0:64 offset1:96
	s_or_b32 s0, s8, 0x50
	v_mul_u32_u24_sdwa v177, v5, v47 dst_sel:DWORD dst_unused:UNUSED_PAD src0_sel:WORD_0 src1_sel:DWORD
	s_mul_hi_i32 s25, s0, s9
	s_mul_i32 s24, s0, s9
	v_mul_u32_u24_sdwa v178, v5, v47 dst_sel:DWORD dst_unused:UNUSED_PAD src0_sel:WORD_1 src1_sel:DWORD
	s_lshl_b64 s[24:25], s[24:25], 2
	v_pk_fma_f16 v172, v69, v83, v59
	s_add_u32 s0, s12, s24
	s_addc_u32 s19, s13, s25
	v_add_co_u32 v5, vcc_lo, s0, v27
	v_mul_u32_u24_sdwa v179, v6, v47 dst_sel:DWORD dst_unused:UNUSED_PAD src0_sel:WORD_0 src1_sel:DWORD
	v_mul_u32_u24_sdwa v180, v6, v47 dst_sel:DWORD dst_unused:UNUSED_PAD src0_sel:WORD_1 src1_sel:DWORD
	v_add_co_ci_u32_e64 v6, null, s19, v28, vcc_lo
	v_add_co_u32 v59, vcc_lo, s0, v29
	v_pk_fma_f16 v173, v69, v78, v60
	v_add_co_ci_u32_e64 v60, null, s19, v30, vcc_lo
	v_add_co_u32 v5, vcc_lo, v5, v89
	v_add_co_ci_u32_e64 v6, null, 0, v6, vcc_lo
	v_add_co_u32 v59, vcc_lo, v59, v89
	v_add_co_ci_u32_e64 v60, null, 0, v60, vcc_lo
	v_pk_fma_f16 v170, v69, v75, v82
	v_pk_fma_f16 v171, v69, v77, v90
	;; [unrolled: 1-line block ×5, first 2 shown]
	s_waitcnt lgkmcnt(1)
	v_pk_fma_f16 v182, v55, v177, v74
	v_pk_fma_f16 v61, v55, v178, v61
	;; [unrolled: 1-line block ×16, first 2 shown]
	s_waitcnt lgkmcnt(0)
	v_pk_fma_f16 v196, v63, v177, v100
	v_pk_fma_f16 v197, v63, v178, v101
	v_pk_fma_f16 v198, v63, v179, v87
	v_pk_fma_f16 v63, v63, v180, v67
	v_pk_fma_f16 v199, v64, v177, v81
	v_pk_fma_f16 v200, v64, v178, v102
	v_pk_fma_f16 v201, v64, v179, v85
	v_pk_fma_f16 v64, v64, v180, v68
	ds_read2_b64 v[55:58], v54 offset0:128 offset1:160
	ds_read2_b64 v[67:70], v54 offset0:192 offset1:224
	ds_read2_b64 v[71:74], v51 offset1:32
	ds_read2_b64 v[75:78], v51 offset0:64 offset1:96
	ds_read2_b64 v[81:84], v51 offset0:128 offset1:160
	;; [unrolled: 1-line block ×3, first 2 shown]
	ds_read2_b64 v[90:93], v50 offset1:32
	ds_read2_b64 v[94:97], v50 offset0:64 offset1:96
	ds_read_b128 v[98:101], v41 offset:576
	ds_read_b128 v[102:105], v41 offset:592
	ds_read2_b64 v[106:109], v50 offset0:128 offset1:160
	ds_read2_b64 v[110:113], v50 offset0:192 offset1:224
	ds_read2_b64 v[114:117], v49 offset1:32
	ds_read2_b64 v[118:121], v49 offset0:64 offset1:96
	ds_read2_b64 v[122:125], v49 offset0:128 offset1:160
	;; [unrolled: 1-line block ×3, first 2 shown]
	ds_read2_b64 v[130:133], v48 offset1:32
	ds_read2_b64 v[134:137], v48 offset0:64 offset1:96
	ds_read_b128 v[138:141], v41 offset:608
	ds_read_b128 v[142:145], v41 offset:624
	ds_read2_b64 v[146:149], v48 offset0:128 offset1:160
	ds_read2_b64 v[150:153], v48 offset0:192 offset1:224
	s_waitcnt lgkmcnt(0)
	s_barrier
	buffer_gl0_inv
	s_clause 0x3
	global_load_dwordx4 v[154:157], v[5:6], off
	global_load_dwordx4 v[158:161], v[5:6], off offset:512
	global_load_dwordx4 v[162:165], v[59:60], off
	global_load_dwordx4 v[166:169], v[59:60], off offset:512
	v_pk_fma_f16 v5, v65, v177, v170
	v_pk_fma_f16 v6, v65, v178, v171
	v_pk_fma_f16 v59, v65, v179, v172
	v_pk_fma_f16 v60, v65, v180, v173
	v_pk_fma_f16 v65, v66, v177, v174
	v_pk_fma_f16 v170, v66, v178, v175
	v_pk_fma_f16 v171, v66, v179, v176
	v_mul_u32_u24_sdwa v172, v7, v47 dst_sel:DWORD dst_unused:UNUSED_PAD src0_sel:WORD_0 src1_sel:DWORD
	v_mul_u32_u24_sdwa v7, v7, v47 dst_sel:DWORD dst_unused:UNUSED_PAD src0_sel:WORD_1 src1_sel:DWORD
	v_mul_u32_u24_sdwa v173, v8, v47 dst_sel:DWORD dst_unused:UNUSED_PAD src0_sel:WORD_0 src1_sel:DWORD
	v_mul_u32_u24_sdwa v8, v8, v47 dst_sel:DWORD dst_unused:UNUSED_PAD src0_sel:WORD_1 src1_sel:DWORD
	v_pk_fma_f16 v66, v66, v180, v181
	v_pk_fma_f16 v174, v55, v172, v182
	v_pk_fma_f16 v61, v55, v7, v61
	v_pk_fma_f16 v175, v55, v173, v183
	v_pk_fma_f16 v55, v55, v8, v184
	v_pk_fma_f16 v176, v56, v172, v185
	v_pk_fma_f16 v177, v56, v7, v186
	v_pk_fma_f16 v178, v56, v173, v187
	v_pk_fma_f16 v56, v56, v8, v188
	v_pk_fma_f16 v179, v57, v172, v189
	v_pk_fma_f16 v79, v57, v7, v79
	v_pk_fma_f16 v180, v57, v173, v190
	v_pk_fma_f16 v57, v57, v8, v191
	v_pk_fma_f16 v181, v58, v172, v192
	v_pk_fma_f16 v182, v58, v7, v193
	v_pk_fma_f16 v183, v58, v173, v194
	v_pk_fma_f16 v58, v58, v8, v195
	v_pk_fma_f16 v184, v67, v172, v196
	v_pk_fma_f16 v185, v67, v7, v197
	v_pk_fma_f16 v186, v67, v173, v198
	v_pk_fma_f16 v63, v67, v8, v63
	v_pk_fma_f16 v67, v68, v172, v199
	v_pk_fma_f16 v187, v68, v7, v200
	v_pk_fma_f16 v188, v68, v173, v201
	v_pk_fma_f16 v64, v68, v8, v64
	v_pk_fma_f16 v5, v69, v172, v5
	v_pk_fma_f16 v6, v69, v7, v6
	v_pk_fma_f16 v59, v69, v173, v59
	v_pk_fma_f16 v60, v69, v8, v60
	v_pk_fma_f16 v65, v70, v172, v65
	v_pk_fma_f16 v7, v70, v7, v170
	v_pk_fma_f16 v68, v70, v173, v171
	v_mul_u32_u24_sdwa v69, v98, v47 dst_sel:DWORD dst_unused:UNUSED_PAD src0_sel:WORD_0 src1_sel:DWORD
	v_mul_u32_u24_sdwa v98, v98, v47 dst_sel:DWORD dst_unused:UNUSED_PAD src0_sel:WORD_1 src1_sel:DWORD
	v_mul_u32_u24_sdwa v170, v99, v47 dst_sel:DWORD dst_unused:UNUSED_PAD src0_sel:WORD_0 src1_sel:DWORD
	v_mul_u32_u24_sdwa v99, v99, v47 dst_sel:DWORD dst_unused:UNUSED_PAD src0_sel:WORD_1 src1_sel:DWORD
	v_pk_fma_f16 v8, v70, v8, v66
	v_pk_fma_f16 v66, v71, v69, v174
	v_pk_fma_f16 v61, v71, v98, v61
	v_pk_fma_f16 v70, v71, v170, v175
	v_pk_fma_f16 v55, v71, v99, v55
	v_pk_fma_f16 v71, v72, v69, v176
	v_pk_fma_f16 v171, v72, v98, v177
	v_pk_fma_f16 v172, v72, v170, v178
	v_pk_fma_f16 v56, v72, v99, v56
	v_pk_fma_f16 v72, v73, v69, v179
	v_pk_fma_f16 v79, v73, v98, v79
	v_pk_fma_f16 v173, v73, v170, v180
	v_pk_fma_f16 v57, v73, v99, v57
	v_pk_fma_f16 v73, v74, v69, v181
	v_pk_fma_f16 v174, v74, v98, v182
	v_pk_fma_f16 v175, v74, v170, v183
	v_pk_fma_f16 v58, v74, v99, v58
	v_pk_fma_f16 v74, v75, v69, v184
	v_pk_fma_f16 v176, v75, v98, v185
	v_pk_fma_f16 v177, v75, v170, v186
	v_pk_fma_f16 v63, v75, v99, v63
	v_pk_fma_f16 v67, v76, v69, v67
	v_pk_fma_f16 v75, v76, v98, v187
	v_pk_fma_f16 v178, v76, v170, v188
	v_pk_fma_f16 v64, v76, v99, v64
	;; [unrolled: 36-line block ×3, first 2 shown]
	v_pk_fma_f16 v5, v87, v69, v5
	v_pk_fma_f16 v6, v87, v76, v6
	;; [unrolled: 1-line block ×6, first 2 shown]
	v_mul_u32_u24_sdwa v69, v102, v47 dst_sel:DWORD dst_unused:UNUSED_PAD src0_sel:WORD_0 src1_sel:DWORD
	v_mul_u32_u24_sdwa v76, v102, v47 dst_sel:DWORD dst_unused:UNUSED_PAD src0_sel:WORD_1 src1_sel:DWORD
	v_mul_u32_u24_sdwa v77, v103, v47 dst_sel:DWORD dst_unused:UNUSED_PAD src0_sel:WORD_0 src1_sel:DWORD
	v_mul_u32_u24_sdwa v86, v103, v47 dst_sel:DWORD dst_unused:UNUSED_PAD src0_sel:WORD_1 src1_sel:DWORD
	v_pk_fma_f16 v60, v87, v98, v60
	v_pk_fma_f16 v8, v88, v98, v8
	;; [unrolled: 1-line block ×16, first 2 shown]
	v_mul_u32_u24_sdwa v77, v105, v47 dst_sel:DWORD dst_unused:UNUSED_PAD src0_sel:WORD_0 src1_sel:DWORD
	v_mul_u32_u24_sdwa v90, v105, v47 dst_sel:DWORD dst_unused:UNUSED_PAD src0_sel:WORD_1 src1_sel:DWORD
	v_pk_fma_f16 v71, v91, v69, v71
	v_pk_fma_f16 v78, v91, v76, v78
	;; [unrolled: 1-line block ×17, first 2 shown]
	v_mul_u32_u24_sdwa v69, v104, v47 dst_sel:DWORD dst_unused:UNUSED_PAD src0_sel:WORD_0 src1_sel:DWORD
	v_mul_u32_u24_sdwa v76, v104, v47 dst_sel:DWORD dst_unused:UNUSED_PAD src0_sel:WORD_1 src1_sel:DWORD
	v_pk_fma_f16 v8, v97, v86, v8
	v_pk_fma_f16 v55, v106, v90, v55
	;; [unrolled: 1-line block ×7, first 2 shown]
	v_mul_u32_u24_sdwa v88, v139, v47 dst_sel:DWORD dst_unused:UNUSED_PAD src0_sel:WORD_1 src1_sel:DWORD
	v_pk_fma_f16 v66, v106, v69, v66
	v_pk_fma_f16 v61, v106, v76, v61
	;; [unrolled: 1-line block ×19, first 2 shown]
	v_mul_u32_u24_sdwa v69, v138, v47 dst_sel:DWORD dst_unused:UNUSED_PAD src0_sel:WORD_0 src1_sel:DWORD
	v_mul_u32_u24_sdwa v76, v138, v47 dst_sel:DWORD dst_unused:UNUSED_PAD src0_sel:WORD_1 src1_sel:DWORD
	v_pk_fma_f16 v8, v113, v90, v8
	v_pk_fma_f16 v55, v114, v88, v55
	;; [unrolled: 1-line block ×5, first 2 shown]
	v_mul_u32_u24_sdwa v90, v141, v47 dst_sel:DWORD dst_unused:UNUSED_PAD src0_sel:WORD_1 src1_sel:DWORD
	v_pk_fma_f16 v66, v114, v69, v66
	v_pk_fma_f16 v61, v114, v76, v61
	;; [unrolled: 1-line block ×19, first 2 shown]
	v_mul_u32_u24_sdwa v69, v140, v47 dst_sel:DWORD dst_unused:UNUSED_PAD src0_sel:WORD_0 src1_sel:DWORD
	v_mul_u32_u24_sdwa v76, v140, v47 dst_sel:DWORD dst_unused:UNUSED_PAD src0_sel:WORD_1 src1_sel:DWORD
	v_pk_fma_f16 v8, v121, v88, v8
	v_pk_fma_f16 v55, v122, v90, v55
	;; [unrolled: 1-line block ×5, first 2 shown]
	v_mul_u32_u24_sdwa v88, v143, v47 dst_sel:DWORD dst_unused:UNUSED_PAD src0_sel:WORD_1 src1_sel:DWORD
	v_pk_fma_f16 v66, v122, v69, v66
	v_pk_fma_f16 v61, v122, v76, v61
	;; [unrolled: 1-line block ×17, first 2 shown]
	v_mul_u32_u24_sdwa v69, v142, v47 dst_sel:DWORD dst_unused:UNUSED_PAD src0_sel:WORD_0 src1_sel:DWORD
	v_mul_u32_u24_sdwa v76, v142, v47 dst_sel:DWORD dst_unused:UNUSED_PAD src0_sel:WORD_1 src1_sel:DWORD
	v_pk_fma_f16 v55, v130, v88, v55
	v_pk_fma_f16 v56, v131, v88, v56
	;; [unrolled: 1-line block ×4, first 2 shown]
	v_mul_u32_u24_sdwa v92, v145, v47 dst_sel:DWORD dst_unused:UNUSED_PAD src0_sel:WORD_1 src1_sel:DWORD
	v_pk_fma_f16 v70, v106, v77, v70
	v_pk_fma_f16 v81, v107, v77, v81
	;; [unrolled: 1-line block ×6, first 2 shown]
	v_mul_u32_u24_sdwa v77, v139, v47 dst_sel:DWORD dst_unused:UNUSED_PAD src0_sel:WORD_0 src1_sel:DWORD
	v_pk_fma_f16 v64, v127, v90, v64
	v_pk_fma_f16 v60, v128, v90, v60
	;; [unrolled: 1-line block ×13, first 2 shown]
	v_mul_u32_u24_sdwa v76, v144, v47 dst_sel:DWORD dst_unused:UNUSED_PAD src0_sel:WORD_0 src1_sel:DWORD
	v_pk_fma_f16 v94, v146, v92, v55
	v_pk_fma_f16 v97, v147, v92, v56
	;; [unrolled: 1-line block ×4, first 2 shown]
	s_waitcnt vmcnt(3)
	ds_write_b128 v42, v[154:157]
	s_waitcnt vmcnt(2)
	ds_write_b128 v43, v[158:161]
	;; [unrolled: 2-line block ×4, first 2 shown]
	s_waitcnt lgkmcnt(0)
	s_barrier
	buffer_gl0_inv
	ds_read_b128 v[55:58], v41 offset:640
	v_pk_fma_f16 v70, v114, v77, v70
	v_pk_fma_f16 v81, v115, v77, v81
	;; [unrolled: 1-line block ×8, first 2 shown]
	v_mul_u32_u24_sdwa v77, v141, v47 dst_sel:DWORD dst_unused:UNUSED_PAD src0_sel:WORD_0 src1_sel:DWORD
	v_pk_fma_f16 v71, v131, v69, v71
	v_pk_fma_f16 v72, v132, v69, v72
	;; [unrolled: 1-line block ×12, first 2 shown]
	ds_read2_b64 v[63:66], v62 offset1:32
	v_pk_fma_f16 v70, v122, v77, v70
	v_pk_fma_f16 v81, v123, v77, v81
	;; [unrolled: 1-line block ×8, first 2 shown]
	v_mul_u32_u24_sdwa v77, v143, v47 dst_sel:DWORD dst_unused:UNUSED_PAD src0_sel:WORD_0 src1_sel:DWORD
	v_mul_u32_u24_sdwa v91, v145, v47 dst_sel:DWORD dst_unused:UNUSED_PAD src0_sel:WORD_0 src1_sel:DWORD
	v_pk_fma_f16 v95, v147, v76, v71
	v_pk_fma_f16 v98, v148, v76, v72
	;; [unrolled: 1-line block ×11, first 2 shown]
	v_mul_u32_u24_sdwa v77, v144, v47 dst_sel:DWORD dst_unused:UNUSED_PAD src0_sel:WORD_1 src1_sel:DWORD
	v_pk_fma_f16 v93, v146, v91, v70
	v_pk_fma_f16 v81, v147, v91, v81
	;; [unrolled: 1-line block ×8, first 2 shown]
	s_waitcnt lgkmcnt(1)
	v_mul_u32_u24_sdwa v110, v55, v47 dst_sel:DWORD dst_unused:UNUSED_PAD src0_sel:WORD_0 src1_sel:DWORD
	v_mul_u32_u24_sdwa v55, v55, v47 dst_sel:DWORD dst_unused:UNUSED_PAD src0_sel:WORD_1 src1_sel:DWORD
	v_mul_u32_u24_sdwa v111, v56, v47 dst_sel:DWORD dst_unused:UNUSED_PAD src0_sel:WORD_0 src1_sel:DWORD
	v_mul_u32_u24_sdwa v56, v56, v47 dst_sel:DWORD dst_unused:UNUSED_PAD src0_sel:WORD_1 src1_sel:DWORD
	v_pk_fma_f16 v102, v150, v76, v74
	v_pk_fma_f16 v87, v150, v91, v87
	v_pk_fma_f16 v104, v151, v76, v67
	v_pk_fma_f16 v85, v151, v91, v85
	v_pk_fma_f16 v59, v152, v91, v59
	v_pk_fma_f16 v108, v153, v76, v69
	v_pk_fma_f16 v91, v153, v91, v68
	ds_read2_b64 v[67:70], v62 offset0:64 offset1:96
	ds_read_b128 v[71:74], v41 offset:656
	v_pk_fma_f16 v84, v150, v77, v84
	v_pk_fma_f16 v105, v151, v77, v75
	;; [unrolled: 1-line block ×8, first 2 shown]
	ds_read_b128 v[75:78], v41 offset:672
	ds_read_b128 v[5:8], v41 offset:688
	s_waitcnt lgkmcnt(4)
	v_pk_fma_f16 v88, v63, v110, v88
	v_pk_fma_f16 v61, v63, v55, v61
	;; [unrolled: 1-line block ×16, first 2 shown]
	ds_read2_b64 v[63:66], v62 offset0:128 offset1:160
	s_waitcnt lgkmcnt(4)
	v_pk_fma_f16 v102, v67, v110, v102
	v_pk_fma_f16 v115, v67, v55, v84
	;; [unrolled: 1-line block ×14, first 2 shown]
	ds_read2_b64 v[81:84], v62 offset0:192 offset1:224
	v_mul_u32_u24_sdwa v107, v57, v47 dst_sel:DWORD dst_unused:UNUSED_PAD src0_sel:WORD_0 src1_sel:DWORD
	v_mul_u32_u24_sdwa v108, v57, v47 dst_sel:DWORD dst_unused:UNUSED_PAD src0_sel:WORD_1 src1_sel:DWORD
	v_mul_u32_u24_sdwa v109, v58, v47 dst_sel:DWORD dst_unused:UNUSED_PAD src0_sel:WORD_0 src1_sel:DWORD
	v_mul_u32_u24_sdwa v110, v58, v47 dst_sel:DWORD dst_unused:UNUSED_PAD src0_sel:WORD_1 src1_sel:DWORD
	v_pk_fma_f16 v91, v70, v111, v91
	v_pk_fma_f16 v70, v70, v56, v92
	s_waitcnt lgkmcnt(1)
	v_pk_fma_f16 v88, v63, v107, v88
	v_pk_fma_f16 v61, v63, v108, v61
	;; [unrolled: 1-line block ×16, first 2 shown]
	ds_read2_b64 v[55:58], v52 offset1:32
	ds_read2_b64 v[63:66], v52 offset0:64 offset1:96
	s_waitcnt lgkmcnt(2)
	v_pk_fma_f16 v102, v81, v107, v102
	v_pk_fma_f16 v113, v81, v108, v115
	;; [unrolled: 1-line block ×13, first 2 shown]
	v_mul_u32_u24_sdwa v104, v71, v47 dst_sel:DWORD dst_unused:UNUSED_PAD src0_sel:WORD_0 src1_sel:DWORD
	v_mul_u32_u24_sdwa v71, v71, v47 dst_sel:DWORD dst_unused:UNUSED_PAD src0_sel:WORD_1 src1_sel:DWORD
	v_mul_u32_u24_sdwa v105, v72, v47 dst_sel:DWORD dst_unused:UNUSED_PAD src0_sel:WORD_0 src1_sel:DWORD
	v_mul_u32_u24_sdwa v72, v72, v47 dst_sel:DWORD dst_unused:UNUSED_PAD src0_sel:WORD_1 src1_sel:DWORD
	v_pk_fma_f16 v83, v84, v108, v106
	v_pk_fma_f16 v91, v84, v109, v91
	;; [unrolled: 1-line block ×3, first 2 shown]
	s_waitcnt lgkmcnt(1)
	v_pk_fma_f16 v88, v55, v104, v88
	v_pk_fma_f16 v61, v55, v71, v61
	;; [unrolled: 1-line block ×16, first 2 shown]
	s_waitcnt lgkmcnt(0)
	v_pk_fma_f16 v102, v63, v104, v102
	v_pk_fma_f16 v108, v63, v71, v113
	ds_read2_b64 v[55:58], v52 offset0:128 offset1:160
	v_pk_fma_f16 v87, v63, v105, v87
	v_pk_fma_f16 v63, v63, v72, v67
	;; [unrolled: 1-line block ×11, first 2 shown]
	ds_read2_b64 v[67:70], v52 offset0:192 offset1:224
	v_pk_fma_f16 v71, v66, v71, v83
	v_pk_fma_f16 v83, v66, v105, v91
	v_mul_u32_u24_sdwa v91, v73, v47 dst_sel:DWORD dst_unused:UNUSED_PAD src0_sel:WORD_0 src1_sel:DWORD
	v_mul_u32_u24_sdwa v73, v73, v47 dst_sel:DWORD dst_unused:UNUSED_PAD src0_sel:WORD_1 src1_sel:DWORD
	v_mul_u32_u24_sdwa v104, v74, v47 dst_sel:DWORD dst_unused:UNUSED_PAD src0_sel:WORD_0 src1_sel:DWORD
	v_mul_u32_u24_sdwa v74, v74, v47 dst_sel:DWORD dst_unused:UNUSED_PAD src0_sel:WORD_1 src1_sel:DWORD
	v_pk_fma_f16 v72, v66, v72, v84
	s_waitcnt lgkmcnt(1)
	v_pk_fma_f16 v84, v55, v91, v88
	v_pk_fma_f16 v61, v55, v73, v61
	;; [unrolled: 1-line block ×16, first 2 shown]
	s_waitcnt lgkmcnt(0)
	v_pk_fma_f16 v102, v67, v91, v102
	v_pk_fma_f16 v106, v67, v73, v108
	ds_read2_b64 v[55:58], v53 offset1:32
	v_pk_fma_f16 v87, v67, v104, v87
	v_pk_fma_f16 v67, v67, v74, v63
	;; [unrolled: 1-line block ×11, first 2 shown]
	ds_read2_b64 v[63:66], v53 offset0:64 offset1:96
	v_pk_fma_f16 v71, v70, v73, v71
	v_pk_fma_f16 v73, v70, v104, v83
	v_mul_u32_u24_sdwa v83, v75, v47 dst_sel:DWORD dst_unused:UNUSED_PAD src0_sel:WORD_0 src1_sel:DWORD
	v_mul_u32_u24_sdwa v75, v75, v47 dst_sel:DWORD dst_unused:UNUSED_PAD src0_sel:WORD_1 src1_sel:DWORD
	v_mul_u32_u24_sdwa v91, v76, v47 dst_sel:DWORD dst_unused:UNUSED_PAD src0_sel:WORD_0 src1_sel:DWORD
	v_mul_u32_u24_sdwa v76, v76, v47 dst_sel:DWORD dst_unused:UNUSED_PAD src0_sel:WORD_1 src1_sel:DWORD
	v_pk_fma_f16 v72, v70, v74, v72
	s_waitcnt lgkmcnt(1)
	v_pk_fma_f16 v74, v55, v83, v84
	v_pk_fma_f16 v61, v55, v75, v61
	;; [unrolled: 1-line block ×16, first 2 shown]
	s_waitcnt lgkmcnt(0)
	v_pk_fma_f16 v102, v63, v83, v102
	v_pk_fma_f16 v104, v63, v75, v106
	ds_read2_b64 v[55:58], v53 offset0:128 offset1:160
	v_pk_fma_f16 v87, v63, v91, v87
	v_pk_fma_f16 v63, v63, v76, v67
	;; [unrolled: 1-line block ×11, first 2 shown]
	ds_read2_b64 v[67:70], v53 offset0:192 offset1:224
	v_pk_fma_f16 v71, v66, v75, v71
	v_mul_u32_u24_sdwa v75, v77, v47 dst_sel:DWORD dst_unused:UNUSED_PAD src0_sel:WORD_0 src1_sel:DWORD
	v_mul_u32_u24_sdwa v77, v77, v47 dst_sel:DWORD dst_unused:UNUSED_PAD src0_sel:WORD_1 src1_sel:DWORD
	v_mul_u32_u24_sdwa v83, v78, v47 dst_sel:DWORD dst_unused:UNUSED_PAD src0_sel:WORD_0 src1_sel:DWORD
	v_mul_u32_u24_sdwa v78, v78, v47 dst_sel:DWORD dst_unused:UNUSED_PAD src0_sel:WORD_1 src1_sel:DWORD
	v_pk_fma_f16 v73, v66, v91, v73
	v_pk_fma_f16 v72, v66, v76, v72
	s_waitcnt lgkmcnt(1)
	v_pk_fma_f16 v74, v55, v75, v74
	v_pk_fma_f16 v61, v55, v77, v61
	;; [unrolled: 1-line block ×16, first 2 shown]
	s_waitcnt lgkmcnt(0)
	v_pk_fma_f16 v100, v67, v75, v102
	v_pk_fma_f16 v101, v67, v77, v104
	ds_read2_b64 v[55:58], v54 offset1:32
	v_pk_fma_f16 v87, v67, v83, v87
	v_pk_fma_f16 v67, v67, v78, v63
	;; [unrolled: 1-line block ×7, first 2 shown]
	ds_read2_b64 v[63:66], v54 offset0:64 offset1:96
	s_or_b32 s0, s8, 0x60
	v_mul_u32_u24_sdwa v177, v5, v47 dst_sel:DWORD dst_unused:UNUSED_PAD src0_sel:WORD_0 src1_sel:DWORD
	s_mul_hi_i32 s25, s0, s9
	s_mul_i32 s24, s0, s9
	v_mul_u32_u24_sdwa v178, v5, v47 dst_sel:DWORD dst_unused:UNUSED_PAD src0_sel:WORD_1 src1_sel:DWORD
	s_lshl_b64 s[24:25], s[24:25], 2
	v_pk_fma_f16 v172, v69, v83, v59
	s_add_u32 s0, s12, s24
	s_addc_u32 s19, s13, s25
	v_add_co_u32 v5, vcc_lo, s0, v27
	v_mul_u32_u24_sdwa v179, v6, v47 dst_sel:DWORD dst_unused:UNUSED_PAD src0_sel:WORD_0 src1_sel:DWORD
	v_mul_u32_u24_sdwa v180, v6, v47 dst_sel:DWORD dst_unused:UNUSED_PAD src0_sel:WORD_1 src1_sel:DWORD
	v_add_co_ci_u32_e64 v6, null, s19, v28, vcc_lo
	v_add_co_u32 v59, vcc_lo, s0, v29
	v_pk_fma_f16 v173, v69, v78, v60
	v_add_co_ci_u32_e64 v60, null, s19, v30, vcc_lo
	v_add_co_u32 v5, vcc_lo, v5, v89
	v_add_co_ci_u32_e64 v6, null, 0, v6, vcc_lo
	v_add_co_u32 v59, vcc_lo, v59, v89
	v_add_co_ci_u32_e64 v60, null, 0, v60, vcc_lo
	v_pk_fma_f16 v170, v69, v75, v82
	v_pk_fma_f16 v171, v69, v77, v90
	;; [unrolled: 1-line block ×5, first 2 shown]
	s_waitcnt lgkmcnt(1)
	v_pk_fma_f16 v182, v55, v177, v74
	v_pk_fma_f16 v61, v55, v178, v61
	;; [unrolled: 1-line block ×16, first 2 shown]
	s_waitcnt lgkmcnt(0)
	v_pk_fma_f16 v196, v63, v177, v100
	v_pk_fma_f16 v197, v63, v178, v101
	;; [unrolled: 1-line block ×8, first 2 shown]
	ds_read2_b64 v[55:58], v54 offset0:128 offset1:160
	ds_read2_b64 v[67:70], v54 offset0:192 offset1:224
	ds_read2_b64 v[71:74], v51 offset1:32
	ds_read2_b64 v[75:78], v51 offset0:64 offset1:96
	ds_read2_b64 v[81:84], v51 offset0:128 offset1:160
	;; [unrolled: 1-line block ×3, first 2 shown]
	ds_read2_b64 v[90:93], v50 offset1:32
	ds_read2_b64 v[94:97], v50 offset0:64 offset1:96
	ds_read_b128 v[98:101], v41 offset:704
	ds_read_b128 v[102:105], v41 offset:720
	ds_read2_b64 v[106:109], v50 offset0:128 offset1:160
	ds_read2_b64 v[110:113], v50 offset0:192 offset1:224
	ds_read2_b64 v[114:117], v49 offset1:32
	ds_read2_b64 v[118:121], v49 offset0:64 offset1:96
	ds_read2_b64 v[122:125], v49 offset0:128 offset1:160
	;; [unrolled: 1-line block ×3, first 2 shown]
	ds_read2_b64 v[130:133], v48 offset1:32
	ds_read2_b64 v[134:137], v48 offset0:64 offset1:96
	ds_read_b128 v[138:141], v41 offset:736
	ds_read_b128 v[142:145], v41 offset:752
	ds_read2_b64 v[146:149], v48 offset0:128 offset1:160
	ds_read2_b64 v[150:153], v48 offset0:192 offset1:224
	s_waitcnt lgkmcnt(0)
	s_barrier
	buffer_gl0_inv
	s_clause 0x3
	global_load_dwordx4 v[154:157], v[5:6], off
	global_load_dwordx4 v[158:161], v[5:6], off offset:512
	global_load_dwordx4 v[162:165], v[59:60], off
	global_load_dwordx4 v[166:169], v[59:60], off offset:512
	v_pk_fma_f16 v5, v65, v177, v170
	v_pk_fma_f16 v6, v65, v178, v171
	v_pk_fma_f16 v59, v65, v179, v172
	v_pk_fma_f16 v60, v65, v180, v173
	v_pk_fma_f16 v65, v66, v177, v174
	v_pk_fma_f16 v170, v66, v178, v175
	v_pk_fma_f16 v171, v66, v179, v176
	v_mul_u32_u24_sdwa v172, v7, v47 dst_sel:DWORD dst_unused:UNUSED_PAD src0_sel:WORD_0 src1_sel:DWORD
	v_mul_u32_u24_sdwa v7, v7, v47 dst_sel:DWORD dst_unused:UNUSED_PAD src0_sel:WORD_1 src1_sel:DWORD
	v_mul_u32_u24_sdwa v173, v8, v47 dst_sel:DWORD dst_unused:UNUSED_PAD src0_sel:WORD_0 src1_sel:DWORD
	v_mul_u32_u24_sdwa v8, v8, v47 dst_sel:DWORD dst_unused:UNUSED_PAD src0_sel:WORD_1 src1_sel:DWORD
	v_pk_fma_f16 v66, v66, v180, v181
	v_pk_fma_f16 v174, v55, v172, v182
	v_pk_fma_f16 v61, v55, v7, v61
	v_pk_fma_f16 v175, v55, v173, v183
	v_pk_fma_f16 v55, v55, v8, v184
	v_pk_fma_f16 v176, v56, v172, v185
	v_pk_fma_f16 v177, v56, v7, v186
	v_pk_fma_f16 v178, v56, v173, v187
	v_pk_fma_f16 v56, v56, v8, v188
	v_pk_fma_f16 v179, v57, v172, v189
	v_pk_fma_f16 v79, v57, v7, v79
	v_pk_fma_f16 v180, v57, v173, v190
	v_pk_fma_f16 v57, v57, v8, v191
	v_pk_fma_f16 v181, v58, v172, v192
	v_pk_fma_f16 v182, v58, v7, v193
	v_pk_fma_f16 v183, v58, v173, v194
	v_pk_fma_f16 v58, v58, v8, v195
	v_pk_fma_f16 v184, v67, v172, v196
	v_pk_fma_f16 v185, v67, v7, v197
	v_pk_fma_f16 v186, v67, v173, v198
	v_pk_fma_f16 v63, v67, v8, v63
	v_pk_fma_f16 v67, v68, v172, v199
	v_pk_fma_f16 v187, v68, v7, v200
	v_pk_fma_f16 v188, v68, v173, v201
	v_pk_fma_f16 v64, v68, v8, v64
	v_pk_fma_f16 v5, v69, v172, v5
	v_pk_fma_f16 v6, v69, v7, v6
	v_pk_fma_f16 v59, v69, v173, v59
	v_pk_fma_f16 v60, v69, v8, v60
	v_pk_fma_f16 v65, v70, v172, v65
	v_pk_fma_f16 v7, v70, v7, v170
	v_pk_fma_f16 v68, v70, v173, v171
	v_mul_u32_u24_sdwa v69, v98, v47 dst_sel:DWORD dst_unused:UNUSED_PAD src0_sel:WORD_0 src1_sel:DWORD
	v_mul_u32_u24_sdwa v98, v98, v47 dst_sel:DWORD dst_unused:UNUSED_PAD src0_sel:WORD_1 src1_sel:DWORD
	v_mul_u32_u24_sdwa v170, v99, v47 dst_sel:DWORD dst_unused:UNUSED_PAD src0_sel:WORD_0 src1_sel:DWORD
	v_mul_u32_u24_sdwa v99, v99, v47 dst_sel:DWORD dst_unused:UNUSED_PAD src0_sel:WORD_1 src1_sel:DWORD
	v_pk_fma_f16 v8, v70, v8, v66
	v_pk_fma_f16 v66, v71, v69, v174
	v_pk_fma_f16 v61, v71, v98, v61
	v_pk_fma_f16 v70, v71, v170, v175
	v_pk_fma_f16 v55, v71, v99, v55
	v_pk_fma_f16 v71, v72, v69, v176
	v_pk_fma_f16 v171, v72, v98, v177
	v_pk_fma_f16 v172, v72, v170, v178
	v_pk_fma_f16 v56, v72, v99, v56
	v_pk_fma_f16 v72, v73, v69, v179
	v_pk_fma_f16 v79, v73, v98, v79
	v_pk_fma_f16 v173, v73, v170, v180
	v_pk_fma_f16 v57, v73, v99, v57
	v_pk_fma_f16 v73, v74, v69, v181
	v_pk_fma_f16 v174, v74, v98, v182
	v_pk_fma_f16 v175, v74, v170, v183
	v_pk_fma_f16 v58, v74, v99, v58
	v_pk_fma_f16 v74, v75, v69, v184
	v_pk_fma_f16 v176, v75, v98, v185
	v_pk_fma_f16 v177, v75, v170, v186
	v_pk_fma_f16 v63, v75, v99, v63
	v_pk_fma_f16 v67, v76, v69, v67
	v_pk_fma_f16 v75, v76, v98, v187
	v_pk_fma_f16 v178, v76, v170, v188
	v_pk_fma_f16 v64, v76, v99, v64
	;; [unrolled: 36-line block ×3, first 2 shown]
	v_pk_fma_f16 v5, v87, v69, v5
	v_pk_fma_f16 v6, v87, v76, v6
	;; [unrolled: 1-line block ×6, first 2 shown]
	v_mul_u32_u24_sdwa v69, v102, v47 dst_sel:DWORD dst_unused:UNUSED_PAD src0_sel:WORD_0 src1_sel:DWORD
	v_mul_u32_u24_sdwa v76, v102, v47 dst_sel:DWORD dst_unused:UNUSED_PAD src0_sel:WORD_1 src1_sel:DWORD
	v_mul_u32_u24_sdwa v77, v103, v47 dst_sel:DWORD dst_unused:UNUSED_PAD src0_sel:WORD_0 src1_sel:DWORD
	v_mul_u32_u24_sdwa v86, v103, v47 dst_sel:DWORD dst_unused:UNUSED_PAD src0_sel:WORD_1 src1_sel:DWORD
	v_pk_fma_f16 v60, v87, v98, v60
	v_pk_fma_f16 v8, v88, v98, v8
	;; [unrolled: 1-line block ×16, first 2 shown]
	v_mul_u32_u24_sdwa v77, v105, v47 dst_sel:DWORD dst_unused:UNUSED_PAD src0_sel:WORD_0 src1_sel:DWORD
	v_mul_u32_u24_sdwa v90, v105, v47 dst_sel:DWORD dst_unused:UNUSED_PAD src0_sel:WORD_1 src1_sel:DWORD
	v_pk_fma_f16 v71, v91, v69, v71
	v_pk_fma_f16 v78, v91, v76, v78
	;; [unrolled: 1-line block ×17, first 2 shown]
	v_mul_u32_u24_sdwa v69, v104, v47 dst_sel:DWORD dst_unused:UNUSED_PAD src0_sel:WORD_0 src1_sel:DWORD
	v_mul_u32_u24_sdwa v76, v104, v47 dst_sel:DWORD dst_unused:UNUSED_PAD src0_sel:WORD_1 src1_sel:DWORD
	v_pk_fma_f16 v8, v97, v86, v8
	v_pk_fma_f16 v55, v106, v90, v55
	;; [unrolled: 1-line block ×7, first 2 shown]
	v_mul_u32_u24_sdwa v88, v139, v47 dst_sel:DWORD dst_unused:UNUSED_PAD src0_sel:WORD_1 src1_sel:DWORD
	v_pk_fma_f16 v66, v106, v69, v66
	v_pk_fma_f16 v61, v106, v76, v61
	;; [unrolled: 1-line block ×19, first 2 shown]
	v_mul_u32_u24_sdwa v69, v138, v47 dst_sel:DWORD dst_unused:UNUSED_PAD src0_sel:WORD_0 src1_sel:DWORD
	v_mul_u32_u24_sdwa v76, v138, v47 dst_sel:DWORD dst_unused:UNUSED_PAD src0_sel:WORD_1 src1_sel:DWORD
	v_pk_fma_f16 v8, v113, v90, v8
	v_pk_fma_f16 v55, v114, v88, v55
	;; [unrolled: 1-line block ×5, first 2 shown]
	v_mul_u32_u24_sdwa v90, v141, v47 dst_sel:DWORD dst_unused:UNUSED_PAD src0_sel:WORD_1 src1_sel:DWORD
	v_pk_fma_f16 v66, v114, v69, v66
	v_pk_fma_f16 v61, v114, v76, v61
	;; [unrolled: 1-line block ×19, first 2 shown]
	v_mul_u32_u24_sdwa v69, v140, v47 dst_sel:DWORD dst_unused:UNUSED_PAD src0_sel:WORD_0 src1_sel:DWORD
	v_mul_u32_u24_sdwa v76, v140, v47 dst_sel:DWORD dst_unused:UNUSED_PAD src0_sel:WORD_1 src1_sel:DWORD
	v_pk_fma_f16 v8, v121, v88, v8
	v_pk_fma_f16 v55, v122, v90, v55
	;; [unrolled: 1-line block ×5, first 2 shown]
	v_mul_u32_u24_sdwa v88, v143, v47 dst_sel:DWORD dst_unused:UNUSED_PAD src0_sel:WORD_1 src1_sel:DWORD
	v_pk_fma_f16 v66, v122, v69, v66
	v_pk_fma_f16 v61, v122, v76, v61
	;; [unrolled: 1-line block ×17, first 2 shown]
	v_mul_u32_u24_sdwa v69, v142, v47 dst_sel:DWORD dst_unused:UNUSED_PAD src0_sel:WORD_0 src1_sel:DWORD
	v_mul_u32_u24_sdwa v76, v142, v47 dst_sel:DWORD dst_unused:UNUSED_PAD src0_sel:WORD_1 src1_sel:DWORD
	v_pk_fma_f16 v55, v130, v88, v55
	v_pk_fma_f16 v56, v131, v88, v56
	;; [unrolled: 1-line block ×4, first 2 shown]
	v_mul_u32_u24_sdwa v92, v145, v47 dst_sel:DWORD dst_unused:UNUSED_PAD src0_sel:WORD_1 src1_sel:DWORD
	v_pk_fma_f16 v70, v106, v77, v70
	v_pk_fma_f16 v81, v107, v77, v81
	;; [unrolled: 1-line block ×6, first 2 shown]
	v_mul_u32_u24_sdwa v77, v139, v47 dst_sel:DWORD dst_unused:UNUSED_PAD src0_sel:WORD_0 src1_sel:DWORD
	v_pk_fma_f16 v64, v127, v90, v64
	v_pk_fma_f16 v60, v128, v90, v60
	;; [unrolled: 1-line block ×13, first 2 shown]
	v_mul_u32_u24_sdwa v76, v144, v47 dst_sel:DWORD dst_unused:UNUSED_PAD src0_sel:WORD_0 src1_sel:DWORD
	v_pk_fma_f16 v94, v146, v92, v55
	v_pk_fma_f16 v97, v147, v92, v56
	;; [unrolled: 1-line block ×4, first 2 shown]
	s_waitcnt vmcnt(3)
	ds_write_b128 v42, v[154:157]
	s_waitcnt vmcnt(2)
	ds_write_b128 v43, v[158:161]
	;; [unrolled: 2-line block ×4, first 2 shown]
	s_waitcnt lgkmcnt(0)
	s_barrier
	buffer_gl0_inv
	ds_read_b128 v[55:58], v41 offset:768
	v_pk_fma_f16 v70, v114, v77, v70
	v_pk_fma_f16 v81, v115, v77, v81
	;; [unrolled: 1-line block ×8, first 2 shown]
	v_mul_u32_u24_sdwa v77, v141, v47 dst_sel:DWORD dst_unused:UNUSED_PAD src0_sel:WORD_0 src1_sel:DWORD
	v_pk_fma_f16 v71, v131, v69, v71
	v_pk_fma_f16 v72, v132, v69, v72
	;; [unrolled: 1-line block ×12, first 2 shown]
	ds_read2_b64 v[63:66], v62 offset1:32
	v_pk_fma_f16 v70, v122, v77, v70
	v_pk_fma_f16 v81, v123, v77, v81
	;; [unrolled: 1-line block ×8, first 2 shown]
	v_mul_u32_u24_sdwa v77, v143, v47 dst_sel:DWORD dst_unused:UNUSED_PAD src0_sel:WORD_0 src1_sel:DWORD
	v_mul_u32_u24_sdwa v91, v145, v47 dst_sel:DWORD dst_unused:UNUSED_PAD src0_sel:WORD_0 src1_sel:DWORD
	v_pk_fma_f16 v95, v147, v76, v71
	v_pk_fma_f16 v98, v148, v76, v72
	v_pk_fma_f16 v100, v149, v76, v73
	v_pk_fma_f16 v70, v130, v77, v70
	v_pk_fma_f16 v81, v131, v77, v81
	v_pk_fma_f16 v82, v132, v77, v82
	v_pk_fma_f16 v86, v133, v77, v86
	v_pk_fma_f16 v87, v134, v77, v87
	v_pk_fma_f16 v85, v135, v77, v85
	v_pk_fma_f16 v59, v136, v77, v59
	v_pk_fma_f16 v68, v137, v77, v68
	v_mul_u32_u24_sdwa v77, v144, v47 dst_sel:DWORD dst_unused:UNUSED_PAD src0_sel:WORD_1 src1_sel:DWORD
	v_pk_fma_f16 v93, v146, v91, v70
	v_pk_fma_f16 v81, v147, v91, v81
	;; [unrolled: 1-line block ×8, first 2 shown]
	s_waitcnt lgkmcnt(1)
	v_mul_u32_u24_sdwa v110, v55, v47 dst_sel:DWORD dst_unused:UNUSED_PAD src0_sel:WORD_0 src1_sel:DWORD
	v_mul_u32_u24_sdwa v55, v55, v47 dst_sel:DWORD dst_unused:UNUSED_PAD src0_sel:WORD_1 src1_sel:DWORD
	v_mul_u32_u24_sdwa v111, v56, v47 dst_sel:DWORD dst_unused:UNUSED_PAD src0_sel:WORD_0 src1_sel:DWORD
	v_mul_u32_u24_sdwa v56, v56, v47 dst_sel:DWORD dst_unused:UNUSED_PAD src0_sel:WORD_1 src1_sel:DWORD
	v_pk_fma_f16 v102, v150, v76, v74
	v_pk_fma_f16 v87, v150, v91, v87
	;; [unrolled: 1-line block ×7, first 2 shown]
	ds_read2_b64 v[67:70], v62 offset0:64 offset1:96
	ds_read_b128 v[71:74], v41 offset:784
	v_pk_fma_f16 v84, v150, v77, v84
	v_pk_fma_f16 v105, v151, v77, v75
	;; [unrolled: 1-line block ×8, first 2 shown]
	ds_read_b128 v[75:78], v41 offset:800
	ds_read_b128 v[5:8], v41 offset:816
	s_waitcnt lgkmcnt(4)
	v_pk_fma_f16 v88, v63, v110, v88
	v_pk_fma_f16 v61, v63, v55, v61
	;; [unrolled: 1-line block ×16, first 2 shown]
	ds_read2_b64 v[63:66], v62 offset0:128 offset1:160
	s_waitcnt lgkmcnt(4)
	v_pk_fma_f16 v102, v67, v110, v102
	v_pk_fma_f16 v115, v67, v55, v84
	;; [unrolled: 1-line block ×14, first 2 shown]
	ds_read2_b64 v[81:84], v62 offset0:192 offset1:224
	v_mul_u32_u24_sdwa v107, v57, v47 dst_sel:DWORD dst_unused:UNUSED_PAD src0_sel:WORD_0 src1_sel:DWORD
	v_mul_u32_u24_sdwa v108, v57, v47 dst_sel:DWORD dst_unused:UNUSED_PAD src0_sel:WORD_1 src1_sel:DWORD
	v_mul_u32_u24_sdwa v109, v58, v47 dst_sel:DWORD dst_unused:UNUSED_PAD src0_sel:WORD_0 src1_sel:DWORD
	v_mul_u32_u24_sdwa v110, v58, v47 dst_sel:DWORD dst_unused:UNUSED_PAD src0_sel:WORD_1 src1_sel:DWORD
	v_pk_fma_f16 v91, v70, v111, v91
	v_pk_fma_f16 v70, v70, v56, v92
	s_waitcnt lgkmcnt(1)
	v_pk_fma_f16 v88, v63, v107, v88
	v_pk_fma_f16 v61, v63, v108, v61
	;; [unrolled: 1-line block ×16, first 2 shown]
	ds_read2_b64 v[55:58], v52 offset1:32
	ds_read2_b64 v[63:66], v52 offset0:64 offset1:96
	s_waitcnt lgkmcnt(2)
	v_pk_fma_f16 v102, v81, v107, v102
	v_pk_fma_f16 v113, v81, v108, v115
	;; [unrolled: 1-line block ×13, first 2 shown]
	v_mul_u32_u24_sdwa v104, v71, v47 dst_sel:DWORD dst_unused:UNUSED_PAD src0_sel:WORD_0 src1_sel:DWORD
	v_mul_u32_u24_sdwa v71, v71, v47 dst_sel:DWORD dst_unused:UNUSED_PAD src0_sel:WORD_1 src1_sel:DWORD
	v_mul_u32_u24_sdwa v105, v72, v47 dst_sel:DWORD dst_unused:UNUSED_PAD src0_sel:WORD_0 src1_sel:DWORD
	v_mul_u32_u24_sdwa v72, v72, v47 dst_sel:DWORD dst_unused:UNUSED_PAD src0_sel:WORD_1 src1_sel:DWORD
	v_pk_fma_f16 v83, v84, v108, v106
	v_pk_fma_f16 v91, v84, v109, v91
	;; [unrolled: 1-line block ×3, first 2 shown]
	s_waitcnt lgkmcnt(1)
	v_pk_fma_f16 v88, v55, v104, v88
	v_pk_fma_f16 v61, v55, v71, v61
	;; [unrolled: 1-line block ×16, first 2 shown]
	s_waitcnt lgkmcnt(0)
	v_pk_fma_f16 v102, v63, v104, v102
	v_pk_fma_f16 v108, v63, v71, v113
	ds_read2_b64 v[55:58], v52 offset0:128 offset1:160
	v_pk_fma_f16 v87, v63, v105, v87
	v_pk_fma_f16 v63, v63, v72, v67
	;; [unrolled: 1-line block ×11, first 2 shown]
	ds_read2_b64 v[67:70], v52 offset0:192 offset1:224
	v_pk_fma_f16 v71, v66, v71, v83
	v_pk_fma_f16 v83, v66, v105, v91
	v_mul_u32_u24_sdwa v91, v73, v47 dst_sel:DWORD dst_unused:UNUSED_PAD src0_sel:WORD_0 src1_sel:DWORD
	v_mul_u32_u24_sdwa v73, v73, v47 dst_sel:DWORD dst_unused:UNUSED_PAD src0_sel:WORD_1 src1_sel:DWORD
	v_mul_u32_u24_sdwa v104, v74, v47 dst_sel:DWORD dst_unused:UNUSED_PAD src0_sel:WORD_0 src1_sel:DWORD
	v_mul_u32_u24_sdwa v74, v74, v47 dst_sel:DWORD dst_unused:UNUSED_PAD src0_sel:WORD_1 src1_sel:DWORD
	v_pk_fma_f16 v72, v66, v72, v84
	s_waitcnt lgkmcnt(1)
	v_pk_fma_f16 v84, v55, v91, v88
	v_pk_fma_f16 v61, v55, v73, v61
	;; [unrolled: 1-line block ×16, first 2 shown]
	s_waitcnt lgkmcnt(0)
	v_pk_fma_f16 v102, v67, v91, v102
	v_pk_fma_f16 v106, v67, v73, v108
	ds_read2_b64 v[55:58], v53 offset1:32
	v_pk_fma_f16 v87, v67, v104, v87
	v_pk_fma_f16 v67, v67, v74, v63
	;; [unrolled: 1-line block ×11, first 2 shown]
	ds_read2_b64 v[63:66], v53 offset0:64 offset1:96
	v_pk_fma_f16 v71, v70, v73, v71
	v_pk_fma_f16 v73, v70, v104, v83
	v_mul_u32_u24_sdwa v83, v75, v47 dst_sel:DWORD dst_unused:UNUSED_PAD src0_sel:WORD_0 src1_sel:DWORD
	v_mul_u32_u24_sdwa v75, v75, v47 dst_sel:DWORD dst_unused:UNUSED_PAD src0_sel:WORD_1 src1_sel:DWORD
	v_mul_u32_u24_sdwa v91, v76, v47 dst_sel:DWORD dst_unused:UNUSED_PAD src0_sel:WORD_0 src1_sel:DWORD
	v_mul_u32_u24_sdwa v76, v76, v47 dst_sel:DWORD dst_unused:UNUSED_PAD src0_sel:WORD_1 src1_sel:DWORD
	v_pk_fma_f16 v72, v70, v74, v72
	s_waitcnt lgkmcnt(1)
	v_pk_fma_f16 v74, v55, v83, v84
	v_pk_fma_f16 v61, v55, v75, v61
	;; [unrolled: 1-line block ×16, first 2 shown]
	s_waitcnt lgkmcnt(0)
	v_pk_fma_f16 v102, v63, v83, v102
	v_pk_fma_f16 v104, v63, v75, v106
	ds_read2_b64 v[55:58], v53 offset0:128 offset1:160
	v_pk_fma_f16 v87, v63, v91, v87
	v_pk_fma_f16 v63, v63, v76, v67
	;; [unrolled: 1-line block ×11, first 2 shown]
	ds_read2_b64 v[67:70], v53 offset0:192 offset1:224
	v_pk_fma_f16 v71, v66, v75, v71
	v_mul_u32_u24_sdwa v75, v77, v47 dst_sel:DWORD dst_unused:UNUSED_PAD src0_sel:WORD_0 src1_sel:DWORD
	v_mul_u32_u24_sdwa v77, v77, v47 dst_sel:DWORD dst_unused:UNUSED_PAD src0_sel:WORD_1 src1_sel:DWORD
	v_mul_u32_u24_sdwa v83, v78, v47 dst_sel:DWORD dst_unused:UNUSED_PAD src0_sel:WORD_0 src1_sel:DWORD
	v_mul_u32_u24_sdwa v78, v78, v47 dst_sel:DWORD dst_unused:UNUSED_PAD src0_sel:WORD_1 src1_sel:DWORD
	v_pk_fma_f16 v73, v66, v91, v73
	v_pk_fma_f16 v72, v66, v76, v72
	s_waitcnt lgkmcnt(1)
	v_pk_fma_f16 v74, v55, v75, v74
	v_pk_fma_f16 v61, v55, v77, v61
	;; [unrolled: 1-line block ×16, first 2 shown]
	s_waitcnt lgkmcnt(0)
	v_pk_fma_f16 v100, v67, v75, v102
	v_pk_fma_f16 v101, v67, v77, v104
	ds_read2_b64 v[55:58], v54 offset1:32
	v_pk_fma_f16 v87, v67, v83, v87
	v_pk_fma_f16 v67, v67, v78, v63
	;; [unrolled: 1-line block ×7, first 2 shown]
	ds_read2_b64 v[63:66], v54 offset0:64 offset1:96
	s_or_b32 s0, s8, 0x70
	v_mul_u32_u24_sdwa v177, v5, v47 dst_sel:DWORD dst_unused:UNUSED_PAD src0_sel:WORD_0 src1_sel:DWORD
	s_mul_hi_i32 s25, s0, s9
	s_mul_i32 s24, s0, s9
	v_mul_u32_u24_sdwa v178, v5, v47 dst_sel:DWORD dst_unused:UNUSED_PAD src0_sel:WORD_1 src1_sel:DWORD
	s_lshl_b64 s[24:25], s[24:25], 2
	v_pk_fma_f16 v172, v69, v83, v59
	s_add_u32 s0, s12, s24
	s_addc_u32 s19, s13, s25
	v_add_co_u32 v5, vcc_lo, s0, v27
	v_mul_u32_u24_sdwa v179, v6, v47 dst_sel:DWORD dst_unused:UNUSED_PAD src0_sel:WORD_0 src1_sel:DWORD
	v_mul_u32_u24_sdwa v180, v6, v47 dst_sel:DWORD dst_unused:UNUSED_PAD src0_sel:WORD_1 src1_sel:DWORD
	v_add_co_ci_u32_e64 v6, null, s19, v28, vcc_lo
	v_add_co_u32 v59, vcc_lo, s0, v29
	v_pk_fma_f16 v173, v69, v78, v60
	v_add_co_ci_u32_e64 v60, null, s19, v30, vcc_lo
	v_add_co_u32 v5, vcc_lo, v5, v89
	v_add_co_ci_u32_e64 v6, null, 0, v6, vcc_lo
	v_add_co_u32 v59, vcc_lo, v59, v89
	v_add_co_ci_u32_e64 v60, null, 0, v60, vcc_lo
	v_pk_fma_f16 v170, v69, v75, v82
	v_pk_fma_f16 v171, v69, v77, v90
	v_pk_fma_f16 v175, v70, v77, v71
	v_pk_fma_f16 v176, v70, v83, v73
	v_pk_fma_f16 v181, v70, v78, v72
	s_waitcnt lgkmcnt(1)
	v_pk_fma_f16 v182, v55, v177, v74
	v_pk_fma_f16 v61, v55, v178, v61
	;; [unrolled: 1-line block ×16, first 2 shown]
	s_waitcnt lgkmcnt(0)
	v_pk_fma_f16 v196, v63, v177, v100
	v_pk_fma_f16 v197, v63, v178, v101
	;; [unrolled: 1-line block ×8, first 2 shown]
	ds_read2_b64 v[55:58], v54 offset0:128 offset1:160
	ds_read2_b64 v[67:70], v54 offset0:192 offset1:224
	ds_read2_b64 v[71:74], v51 offset1:32
	ds_read2_b64 v[75:78], v51 offset0:64 offset1:96
	ds_read2_b64 v[81:84], v51 offset0:128 offset1:160
	;; [unrolled: 1-line block ×3, first 2 shown]
	ds_read2_b64 v[90:93], v50 offset1:32
	ds_read2_b64 v[94:97], v50 offset0:64 offset1:96
	ds_read_b128 v[98:101], v41 offset:832
	ds_read_b128 v[102:105], v41 offset:848
	ds_read2_b64 v[106:109], v50 offset0:128 offset1:160
	ds_read2_b64 v[110:113], v50 offset0:192 offset1:224
	ds_read2_b64 v[114:117], v49 offset1:32
	ds_read2_b64 v[118:121], v49 offset0:64 offset1:96
	ds_read2_b64 v[122:125], v49 offset0:128 offset1:160
	;; [unrolled: 1-line block ×3, first 2 shown]
	ds_read2_b64 v[130:133], v48 offset1:32
	ds_read2_b64 v[134:137], v48 offset0:64 offset1:96
	ds_read_b128 v[138:141], v41 offset:864
	ds_read_b128 v[142:145], v41 offset:880
	ds_read2_b64 v[146:149], v48 offset0:128 offset1:160
	ds_read2_b64 v[150:153], v48 offset0:192 offset1:224
	s_waitcnt lgkmcnt(0)
	s_barrier
	buffer_gl0_inv
	s_clause 0x3
	global_load_dwordx4 v[154:157], v[5:6], off
	global_load_dwordx4 v[158:161], v[5:6], off offset:512
	global_load_dwordx4 v[162:165], v[59:60], off
	global_load_dwordx4 v[166:169], v[59:60], off offset:512
	v_pk_fma_f16 v5, v65, v177, v170
	v_pk_fma_f16 v6, v65, v178, v171
	v_pk_fma_f16 v59, v65, v179, v172
	v_pk_fma_f16 v60, v65, v180, v173
	v_pk_fma_f16 v65, v66, v177, v174
	v_pk_fma_f16 v89, v66, v178, v175
	v_pk_fma_f16 v170, v66, v179, v176
	v_mul_u32_u24_sdwa v171, v7, v47 dst_sel:DWORD dst_unused:UNUSED_PAD src0_sel:WORD_0 src1_sel:DWORD
	v_mul_u32_u24_sdwa v7, v7, v47 dst_sel:DWORD dst_unused:UNUSED_PAD src0_sel:WORD_1 src1_sel:DWORD
	v_mul_u32_u24_sdwa v172, v8, v47 dst_sel:DWORD dst_unused:UNUSED_PAD src0_sel:WORD_0 src1_sel:DWORD
	v_mul_u32_u24_sdwa v8, v8, v47 dst_sel:DWORD dst_unused:UNUSED_PAD src0_sel:WORD_1 src1_sel:DWORD
	v_pk_fma_f16 v66, v66, v180, v181
	v_pk_fma_f16 v173, v55, v171, v182
	v_pk_fma_f16 v61, v55, v7, v61
	v_pk_fma_f16 v174, v55, v172, v183
	v_pk_fma_f16 v55, v55, v8, v184
	v_pk_fma_f16 v175, v56, v171, v185
	v_pk_fma_f16 v176, v56, v7, v186
	v_pk_fma_f16 v177, v56, v172, v187
	v_pk_fma_f16 v56, v56, v8, v188
	v_pk_fma_f16 v178, v57, v171, v189
	v_pk_fma_f16 v79, v57, v7, v79
	v_pk_fma_f16 v179, v57, v172, v190
	v_pk_fma_f16 v57, v57, v8, v191
	v_pk_fma_f16 v180, v58, v171, v192
	v_pk_fma_f16 v181, v58, v7, v193
	v_pk_fma_f16 v182, v58, v172, v194
	v_pk_fma_f16 v58, v58, v8, v195
	v_pk_fma_f16 v183, v67, v171, v196
	v_pk_fma_f16 v184, v67, v7, v197
	v_pk_fma_f16 v185, v67, v172, v198
	v_pk_fma_f16 v63, v67, v8, v63
	v_pk_fma_f16 v67, v68, v171, v199
	v_pk_fma_f16 v186, v68, v7, v200
	v_pk_fma_f16 v187, v68, v172, v201
	v_pk_fma_f16 v64, v68, v8, v64
	v_pk_fma_f16 v5, v69, v171, v5
	v_pk_fma_f16 v6, v69, v7, v6
	v_pk_fma_f16 v59, v69, v172, v59
	v_pk_fma_f16 v60, v69, v8, v60
	v_pk_fma_f16 v65, v70, v171, v65
	v_pk_fma_f16 v7, v70, v7, v89
	v_pk_fma_f16 v68, v70, v172, v170
	v_mul_u32_u24_sdwa v69, v98, v47 dst_sel:DWORD dst_unused:UNUSED_PAD src0_sel:WORD_0 src1_sel:DWORD
	v_mul_u32_u24_sdwa v89, v98, v47 dst_sel:DWORD dst_unused:UNUSED_PAD src0_sel:WORD_1 src1_sel:DWORD
	v_mul_u32_u24_sdwa v98, v99, v47 dst_sel:DWORD dst_unused:UNUSED_PAD src0_sel:WORD_0 src1_sel:DWORD
	v_mul_u32_u24_sdwa v99, v99, v47 dst_sel:DWORD dst_unused:UNUSED_PAD src0_sel:WORD_1 src1_sel:DWORD
	v_pk_fma_f16 v8, v70, v8, v66
	v_pk_fma_f16 v66, v71, v69, v173
	v_pk_fma_f16 v61, v71, v89, v61
	v_pk_fma_f16 v70, v71, v98, v174
	v_pk_fma_f16 v55, v71, v99, v55
	v_pk_fma_f16 v71, v72, v69, v175
	v_pk_fma_f16 v170, v72, v89, v176
	v_pk_fma_f16 v171, v72, v98, v177
	v_pk_fma_f16 v56, v72, v99, v56
	v_pk_fma_f16 v72, v73, v69, v178
	v_pk_fma_f16 v79, v73, v89, v79
	v_pk_fma_f16 v172, v73, v98, v179
	v_pk_fma_f16 v57, v73, v99, v57
	v_pk_fma_f16 v73, v74, v69, v180
	v_pk_fma_f16 v173, v74, v89, v181
	v_pk_fma_f16 v174, v74, v98, v182
	v_pk_fma_f16 v58, v74, v99, v58
	v_pk_fma_f16 v74, v75, v69, v183
	v_pk_fma_f16 v175, v75, v89, v184
	v_pk_fma_f16 v176, v75, v98, v185
	v_pk_fma_f16 v63, v75, v99, v63
	v_pk_fma_f16 v67, v76, v69, v67
	v_pk_fma_f16 v75, v76, v89, v186
	v_pk_fma_f16 v177, v76, v98, v187
	v_pk_fma_f16 v64, v76, v99, v64
	;; [unrolled: 36-line block ×5, first 2 shown]
	v_pk_fma_f16 v7, v113, v76, v7
	v_mul_u32_u24_sdwa v69, v138, v47 dst_sel:DWORD dst_unused:UNUSED_PAD src0_sel:WORD_0 src1_sel:DWORD
	v_mul_u32_u24_sdwa v76, v138, v47 dst_sel:DWORD dst_unused:UNUSED_PAD src0_sel:WORD_1 src1_sel:DWORD
	v_mul_u32_u24_sdwa v88, v139, v47 dst_sel:DWORD dst_unused:UNUSED_PAD src0_sel:WORD_1 src1_sel:DWORD
	v_pk_fma_f16 v8, v113, v89, v8
	v_mul_u32_u24_sdwa v89, v141, v47 dst_sel:DWORD dst_unused:UNUSED_PAD src0_sel:WORD_1 src1_sel:DWORD
	v_pk_fma_f16 v66, v114, v69, v66
	v_pk_fma_f16 v61, v114, v76, v61
	;; [unrolled: 1-line block ×23, first 2 shown]
	v_mul_u32_u24_sdwa v69, v140, v47 dst_sel:DWORD dst_unused:UNUSED_PAD src0_sel:WORD_0 src1_sel:DWORD
	v_mul_u32_u24_sdwa v76, v140, v47 dst_sel:DWORD dst_unused:UNUSED_PAD src0_sel:WORD_1 src1_sel:DWORD
	v_pk_fma_f16 v8, v121, v88, v8
	v_pk_fma_f16 v55, v122, v89, v55
	;; [unrolled: 1-line block ×24, first 2 shown]
	v_mul_u32_u24_sdwa v69, v142, v47 dst_sel:DWORD dst_unused:UNUSED_PAD src0_sel:WORD_0 src1_sel:DWORD
	v_mul_u32_u24_sdwa v76, v142, v47 dst_sel:DWORD dst_unused:UNUSED_PAD src0_sel:WORD_1 src1_sel:DWORD
	v_mul_u32_u24_sdwa v88, v143, v47 dst_sel:DWORD dst_unused:UNUSED_PAD src0_sel:WORD_1 src1_sel:DWORD
	v_pk_fma_f16 v8, v129, v89, v8
	v_pk_fma_f16 v70, v106, v77, v70
	v_pk_fma_f16 v81, v107, v77, v81
	v_pk_fma_f16 v82, v108, v77, v82
	v_pk_fma_f16 v85, v111, v77, v85
	v_pk_fma_f16 v59, v112, v77, v59
	v_pk_fma_f16 v68, v113, v77, v68
	v_mul_u32_u24_sdwa v77, v139, v47 dst_sel:DWORD dst_unused:UNUSED_PAD src0_sel:WORD_0 src1_sel:DWORD
	v_pk_fma_f16 v66, v130, v69, v66
	v_pk_fma_f16 v55, v130, v88, v55
	;; [unrolled: 1-line block ×17, first 2 shown]
	v_mul_u32_u24_sdwa v92, v145, v47 dst_sel:DWORD dst_unused:UNUSED_PAD src0_sel:WORD_1 src1_sel:DWORD
	v_pk_fma_f16 v88, v137, v88, v8
	s_waitcnt vmcnt(3)
	ds_write_b128 v42, v[154:157]
	s_waitcnt vmcnt(2)
	ds_write_b128 v43, v[158:161]
	;; [unrolled: 2-line block ×4, first 2 shown]
	s_waitcnt lgkmcnt(0)
	s_barrier
	buffer_gl0_inv
	ds_read_b128 v[5:8], v41 offset:896
	v_pk_fma_f16 v70, v114, v77, v70
	v_pk_fma_f16 v81, v115, v77, v81
	;; [unrolled: 1-line block ×8, first 2 shown]
	v_mul_u32_u24_sdwa v77, v141, v47 dst_sel:DWORD dst_unused:UNUSED_PAD src0_sel:WORD_0 src1_sel:DWORD
	v_pk_fma_f16 v95, v146, v92, v55
	v_pk_fma_f16 v98, v147, v92, v56
	;; [unrolled: 1-line block ×4, first 2 shown]
	ds_read2_b64 v[55:58], v62 offset1:32
	v_pk_fma_f16 v70, v122, v77, v70
	v_pk_fma_f16 v81, v123, v77, v81
	;; [unrolled: 1-line block ×8, first 2 shown]
	v_mul_u32_u24_sdwa v77, v143, v47 dst_sel:DWORD dst_unused:UNUSED_PAD src0_sel:WORD_0 src1_sel:DWORD
	v_pk_fma_f16 v61, v130, v76, v61
	v_pk_fma_f16 v78, v131, v76, v78
	;; [unrolled: 1-line block ×14, first 2 shown]
	v_mul_u32_u24_sdwa v76, v144, v47 dst_sel:DWORD dst_unused:UNUSED_PAD src0_sel:WORD_0 src1_sel:DWORD
	v_mul_u32_u24_sdwa v77, v144, v47 dst_sel:DWORD dst_unused:UNUSED_PAD src0_sel:WORD_1 src1_sel:DWORD
	v_mul_u32_u24_sdwa v91, v145, v47 dst_sel:DWORD dst_unused:UNUSED_PAD src0_sel:WORD_0 src1_sel:DWORD
	v_pk_fma_f16 v104, v150, v92, v63
	v_pk_fma_f16 v107, v151, v92, v64
	;; [unrolled: 1-line block ×14, first 2 shown]
	ds_read2_b64 v[63:66], v62 offset0:64 offset1:96
	ds_read_b128 v[67:70], v41 offset:912
	v_pk_fma_f16 v61, v146, v77, v61
	v_pk_fma_f16 v96, v147, v76, v71
	;; [unrolled: 1-line block ×9, first 2 shown]
	s_waitcnt lgkmcnt(3)
	v_mul_u32_u24_sdwa v92, v5, v47 dst_sel:DWORD dst_unused:UNUSED_PAD src0_sel:WORD_0 src1_sel:DWORD
	v_mul_u32_u24_sdwa v5, v5, v47 dst_sel:DWORD dst_unused:UNUSED_PAD src0_sel:WORD_1 src1_sel:DWORD
	v_mul_u32_u24_sdwa v110, v6, v47 dst_sel:DWORD dst_unused:UNUSED_PAD src0_sel:WORD_0 src1_sel:DWORD
	v_mul_u32_u24_sdwa v6, v6, v47 dst_sel:DWORD dst_unused:UNUSED_PAD src0_sel:WORD_1 src1_sel:DWORD
	v_pk_fma_f16 v103, v150, v76, v74
	v_pk_fma_f16 v84, v150, v77, v84
	;; [unrolled: 1-line block ×5, first 2 shown]
	ds_read_b128 v[71:74], v41 offset:928
	ds_read_b128 v[75:78], v41 offset:944
	s_waitcnt lgkmcnt(4)
	v_pk_fma_f16 v93, v55, v92, v93
	v_pk_fma_f16 v111, v55, v5, v61
	;; [unrolled: 1-line block ×16, first 2 shown]
	ds_read2_b64 v[55:58], v62 offset0:128 offset1:160
	s_waitcnt lgkmcnt(4)
	v_pk_fma_f16 v103, v63, v92, v103
	v_pk_fma_f16 v84, v63, v5, v84
	;; [unrolled: 1-line block ×10, first 2 shown]
	ds_read2_b64 v[59:62], v62 offset0:192 offset1:224
	v_pk_fma_f16 v85, v64, v110, v85
	v_pk_fma_f16 v64, v64, v6, v107
	;; [unrolled: 1-line block ×5, first 2 shown]
	v_mul_u32_u24_sdwa v108, v7, v47 dst_sel:DWORD dst_unused:UNUSED_PAD src0_sel:WORD_0 src1_sel:DWORD
	v_mul_u32_u24_sdwa v109, v7, v47 dst_sel:DWORD dst_unused:UNUSED_PAD src0_sel:WORD_1 src1_sel:DWORD
	v_mul_u32_u24_sdwa v110, v8, v47 dst_sel:DWORD dst_unused:UNUSED_PAD src0_sel:WORD_0 src1_sel:DWORD
	v_mul_u32_u24_sdwa v112, v8, v47 dst_sel:DWORD dst_unused:UNUSED_PAD src0_sel:WORD_1 src1_sel:DWORD
	v_pk_fma_f16 v66, v66, v6, v88
	ds_read2_b64 v[5:8], v52 offset1:32
	s_waitcnt lgkmcnt(2)
	v_pk_fma_f16 v88, v55, v108, v93
	v_pk_fma_f16 v93, v55, v109, v111
	;; [unrolled: 1-line block ×16, first 2 shown]
	ds_read2_b64 v[55:58], v52 offset0:64 offset1:96
	s_waitcnt lgkmcnt(2)
	v_pk_fma_f16 v103, v59, v108, v103
	v_pk_fma_f16 v84, v59, v109, v84
	;; [unrolled: 1-line block ×11, first 2 shown]
	v_mul_u32_u24_sdwa v105, v67, v47 dst_sel:DWORD dst_unused:UNUSED_PAD src0_sel:WORD_0 src1_sel:DWORD
	v_mul_u32_u24_sdwa v67, v67, v47 dst_sel:DWORD dst_unused:UNUSED_PAD src0_sel:WORD_1 src1_sel:DWORD
	v_mul_u32_u24_sdwa v106, v68, v47 dst_sel:DWORD dst_unused:UNUSED_PAD src0_sel:WORD_0 src1_sel:DWORD
	v_mul_u32_u24_sdwa v68, v68, v47 dst_sel:DWORD dst_unused:UNUSED_PAD src0_sel:WORD_1 src1_sel:DWORD
	v_pk_fma_f16 v61, v61, v112, v65
	s_waitcnt lgkmcnt(1)
	v_pk_fma_f16 v88, v5, v105, v88
	v_pk_fma_f16 v93, v5, v67, v93
	;; [unrolled: 1-line block ×16, first 2 shown]
	ds_read2_b64 v[5:8], v52 offset0:128 offset1:160
	v_pk_fma_f16 v65, v62, v108, v92
	v_pk_fma_f16 v92, v62, v109, v107
	;; [unrolled: 1-line block ×4, first 2 shown]
	s_waitcnt lgkmcnt(1)
	v_pk_fma_f16 v103, v55, v105, v103
	v_pk_fma_f16 v84, v55, v67, v84
	;; [unrolled: 1-line block ×12, first 2 shown]
	ds_read2_b64 v[59:62], v52 offset0:192 offset1:224
	v_pk_fma_f16 v67, v58, v67, v92
	v_mul_u32_u24_sdwa v52, v69, v47 dst_sel:DWORD dst_unused:UNUSED_PAD src0_sel:WORD_0 src1_sel:DWORD
	v_mul_u32_u24_sdwa v69, v69, v47 dst_sel:DWORD dst_unused:UNUSED_PAD src0_sel:WORD_1 src1_sel:DWORD
	v_mul_u32_u24_sdwa v92, v70, v47 dst_sel:DWORD dst_unused:UNUSED_PAD src0_sel:WORD_0 src1_sel:DWORD
	v_mul_u32_u24_sdwa v70, v70, v47 dst_sel:DWORD dst_unused:UNUSED_PAD src0_sel:WORD_1 src1_sel:DWORD
	v_pk_fma_f16 v66, v58, v68, v66
	s_waitcnt lgkmcnt(1)
	v_pk_fma_f16 v68, v5, v52, v88
	v_pk_fma_f16 v88, v5, v69, v93
	;; [unrolled: 1-line block ×16, first 2 shown]
	ds_read2_b64 v[5:8], v53 offset1:32
	v_pk_fma_f16 v65, v58, v105, v65
	v_pk_fma_f16 v91, v58, v106, v91
	s_waitcnt lgkmcnt(1)
	v_pk_fma_f16 v102, v59, v52, v103
	v_pk_fma_f16 v84, v59, v69, v84
	;; [unrolled: 1-line block ×12, first 2 shown]
	ds_read2_b64 v[55:58], v53 offset0:64 offset1:96
	v_pk_fma_f16 v52, v62, v52, v65
	v_pk_fma_f16 v65, v62, v69, v67
	;; [unrolled: 1-line block ×3, first 2 shown]
	v_mul_u32_u24_sdwa v69, v71, v47 dst_sel:DWORD dst_unused:UNUSED_PAD src0_sel:WORD_0 src1_sel:DWORD
	v_mul_u32_u24_sdwa v71, v71, v47 dst_sel:DWORD dst_unused:UNUSED_PAD src0_sel:WORD_1 src1_sel:DWORD
	v_mul_u32_u24_sdwa v91, v72, v47 dst_sel:DWORD dst_unused:UNUSED_PAD src0_sel:WORD_0 src1_sel:DWORD
	v_mul_u32_u24_sdwa v72, v72, v47 dst_sel:DWORD dst_unused:UNUSED_PAD src0_sel:WORD_1 src1_sel:DWORD
	v_pk_fma_f16 v66, v62, v70, v66
	s_waitcnt lgkmcnt(1)
	v_pk_fma_f16 v68, v5, v69, v68
	v_pk_fma_f16 v70, v5, v71, v88
	;; [unrolled: 1-line block ×16, first 2 shown]
	ds_read2_b64 v[5:8], v53 offset0:128 offset1:160
	s_waitcnt lgkmcnt(1)
	v_pk_fma_f16 v100, v55, v69, v102
	v_pk_fma_f16 v84, v55, v71, v84
	;; [unrolled: 1-line block ×12, first 2 shown]
	ds_read2_b64 v[59:62], v53 offset0:192 offset1:224
	v_pk_fma_f16 v52, v58, v69, v52
	v_pk_fma_f16 v65, v58, v71, v65
	v_mul_u32_u24_sdwa v53, v73, v47 dst_sel:DWORD dst_unused:UNUSED_PAD src0_sel:WORD_0 src1_sel:DWORD
	v_mul_u32_u24_sdwa v69, v73, v47 dst_sel:DWORD dst_unused:UNUSED_PAD src0_sel:WORD_1 src1_sel:DWORD
	v_mul_u32_u24_sdwa v71, v74, v47 dst_sel:DWORD dst_unused:UNUSED_PAD src0_sel:WORD_0 src1_sel:DWORD
	v_mul_u32_u24_sdwa v73, v74, v47 dst_sel:DWORD dst_unused:UNUSED_PAD src0_sel:WORD_1 src1_sel:DWORD
	v_pk_fma_f16 v67, v58, v91, v67
	v_pk_fma_f16 v66, v58, v72, v66
	s_waitcnt lgkmcnt(1)
	v_pk_fma_f16 v68, v5, v53, v68
	v_pk_fma_f16 v70, v5, v69, v70
	;; [unrolled: 1-line block ×16, first 2 shown]
	ds_read2_b64 v[5:8], v54 offset1:32
	s_waitcnt lgkmcnt(1)
	v_pk_fma_f16 v97, v59, v53, v100
	v_pk_fma_f16 v84, v59, v69, v84
	v_pk_fma_f16 v87, v59, v71, v87
	v_pk_fma_f16 v59, v59, v73, v55
	v_pk_fma_f16 v63, v60, v53, v63
	v_pk_fma_f16 v98, v60, v69, v101
	v_pk_fma_f16 v85, v60, v71, v85
	v_pk_fma_f16 v60, v60, v73, v56
	v_pk_fma_f16 v64, v61, v53, v64
	v_pk_fma_f16 v89, v61, v69, v89
	v_pk_fma_f16 v90, v61, v71, v90
	v_pk_fma_f16 v61, v61, v73, v57
	ds_read2_b64 v[55:58], v54 offset0:64 offset1:96
	v_pk_fma_f16 v52, v62, v53, v52
	v_pk_fma_f16 v53, v62, v69, v65
	;; [unrolled: 1-line block ×3, first 2 shown]
	v_mul_u32_u24_sdwa v67, v75, v47 dst_sel:DWORD dst_unused:UNUSED_PAD src0_sel:WORD_0 src1_sel:DWORD
	v_mul_u32_u24_sdwa v69, v75, v47 dst_sel:DWORD dst_unused:UNUSED_PAD src0_sel:WORD_1 src1_sel:DWORD
	v_mul_u32_u24_sdwa v71, v76, v47 dst_sel:DWORD dst_unused:UNUSED_PAD src0_sel:WORD_0 src1_sel:DWORD
	v_mul_u32_u24_sdwa v75, v76, v47 dst_sel:DWORD dst_unused:UNUSED_PAD src0_sel:WORD_1 src1_sel:DWORD
	v_pk_fma_f16 v62, v62, v73, v66
	s_waitcnt lgkmcnt(1)
	v_pk_fma_f16 v66, v5, v67, v68
	v_pk_fma_f16 v68, v5, v69, v70
	;; [unrolled: 1-line block ×16, first 2 shown]
	ds_read2_b64 v[5:8], v54 offset0:128 offset1:160
	s_waitcnt lgkmcnt(1)
	v_pk_fma_f16 v94, v55, v67, v97
	v_pk_fma_f16 v84, v55, v69, v84
	;; [unrolled: 1-line block ×10, first 2 shown]
	ds_read2_b64 v[52:55], v54 offset0:192 offset1:224
	v_pk_fma_f16 v85, v56, v71, v85
	v_pk_fma_f16 v60, v56, v75, v60
	;; [unrolled: 1-line block ×5, first 2 shown]
	v_mul_u32_u24_sdwa v71, v77, v47 dst_sel:DWORD dst_unused:UNUSED_PAD src0_sel:WORD_0 src1_sel:DWORD
	v_mul_u32_u24_sdwa v77, v77, v47 dst_sel:DWORD dst_unused:UNUSED_PAD src0_sel:WORD_1 src1_sel:DWORD
	v_mul_u32_u24_sdwa v97, v78, v47 dst_sel:DWORD dst_unused:UNUSED_PAD src0_sel:WORD_0 src1_sel:DWORD
	v_mul_u32_u24_sdwa v78, v78, v47 dst_sel:DWORD dst_unused:UNUSED_PAD src0_sel:WORD_1 src1_sel:DWORD
	v_pk_fma_f16 v75, v58, v75, v62
	ds_read_b128 v[56:59], v41 offset:960
	s_waitcnt lgkmcnt(2)
	v_pk_fma_f16 v98, v5, v71, v66
	v_pk_fma_f16 v68, v5, v77, v68
	v_pk_fma_f16 v70, v5, v97, v70
	v_pk_fma_f16 v72, v5, v78, v72
	v_pk_fma_f16 v73, v6, v71, v73
	v_pk_fma_f16 v74, v6, v77, v74
	v_pk_fma_f16 v76, v6, v97, v76
	v_pk_fma_f16 v81, v6, v78, v81
	v_pk_fma_f16 v88, v7, v71, v88
	v_pk_fma_f16 v79, v7, v77, v79
	v_pk_fma_f16 v82, v7, v97, v82
	v_pk_fma_f16 v91, v7, v78, v91
	v_pk_fma_f16 v92, v8, v71, v92
	v_pk_fma_f16 v83, v8, v77, v83
	v_pk_fma_f16 v86, v8, v97, v86
	v_pk_fma_f16 v93, v8, v78, v93
	ds_read2_b64 v[5:8], v51 offset1:32
	s_waitcnt lgkmcnt(2)
	v_pk_fma_f16 v94, v52, v71, v94
	v_pk_fma_f16 v84, v52, v77, v84
	;; [unrolled: 1-line block ×15, first 2 shown]
	ds_read2_b64 v[60:63], v51 offset0:64 offset1:96
	ds_read_b128 v[64:67], v41 offset:976
	s_waitcnt lgkmcnt(3)
	v_mul_u32_u24_sdwa v97, v56, v47 dst_sel:DWORD dst_unused:UNUSED_PAD src0_sel:WORD_0 src1_sel:DWORD
	v_mul_u32_u24_sdwa v56, v56, v47 dst_sel:DWORD dst_unused:UNUSED_PAD src0_sel:WORD_1 src1_sel:DWORD
	v_mul_u32_u24_sdwa v100, v57, v47 dst_sel:DWORD dst_unused:UNUSED_PAD src0_sel:WORD_0 src1_sel:DWORD
	v_mul_u32_u24_sdwa v57, v57, v47 dst_sel:DWORD dst_unused:UNUSED_PAD src0_sel:WORD_1 src1_sel:DWORD
	v_pk_fma_f16 v55, v55, v78, v75
	s_waitcnt lgkmcnt(2)
	v_pk_fma_f16 v75, v5, v97, v98
	v_pk_fma_f16 v68, v5, v56, v68
	;; [unrolled: 1-line block ×16, first 2 shown]
	ds_read2_b64 v[5:8], v51 offset0:128 offset1:160
	s_waitcnt lgkmcnt(2)
	v_pk_fma_f16 v93, v60, v97, v94
	v_pk_fma_f16 v84, v60, v56, v84
	;; [unrolled: 1-line block ×12, first 2 shown]
	ds_read2_b64 v[51:54], v51 offset0:192 offset1:224
	v_pk_fma_f16 v71, v63, v97, v71
	v_pk_fma_f16 v56, v63, v56, v69
	;; [unrolled: 1-line block ×3, first 2 shown]
	v_mul_u32_u24_sdwa v77, v58, v47 dst_sel:DWORD dst_unused:UNUSED_PAD src0_sel:WORD_0 src1_sel:DWORD
	v_mul_u32_u24_sdwa v58, v58, v47 dst_sel:DWORD dst_unused:UNUSED_PAD src0_sel:WORD_1 src1_sel:DWORD
	v_mul_u32_u24_sdwa v97, v59, v47 dst_sel:DWORD dst_unused:UNUSED_PAD src0_sel:WORD_0 src1_sel:DWORD
	v_mul_u32_u24_sdwa v59, v59, v47 dst_sel:DWORD dst_unused:UNUSED_PAD src0_sel:WORD_1 src1_sel:DWORD
	v_pk_fma_f16 v63, v63, v57, v55
	s_waitcnt lgkmcnt(1)
	v_pk_fma_f16 v75, v5, v77, v75
	v_pk_fma_f16 v68, v5, v58, v68
	;; [unrolled: 1-line block ×16, first 2 shown]
	ds_read2_b64 v[5:8], v50 offset1:32
	s_waitcnt lgkmcnt(1)
	v_pk_fma_f16 v93, v51, v77, v93
	v_pk_fma_f16 v84, v51, v58, v84
	v_pk_fma_f16 v87, v51, v97, v87
	v_pk_fma_f16 v51, v51, v59, v60
	v_pk_fma_f16 v60, v52, v77, v94
	v_pk_fma_f16 v94, v52, v58, v95
	v_pk_fma_f16 v85, v52, v97, v85
	v_pk_fma_f16 v52, v52, v59, v61
	v_pk_fma_f16 v61, v53, v77, v96
	v_pk_fma_f16 v89, v53, v58, v89
	v_pk_fma_f16 v90, v53, v97, v90
	v_pk_fma_f16 v53, v53, v59, v62
	v_pk_fma_f16 v62, v54, v77, v71
	v_pk_fma_f16 v71, v54, v58, v56
	ds_read2_b64 v[55:58], v50 offset0:64 offset1:96
	v_mul_u32_u24_sdwa v77, v64, v47 dst_sel:DWORD dst_unused:UNUSED_PAD src0_sel:WORD_0 src1_sel:DWORD
	v_mul_u32_u24_sdwa v64, v64, v47 dst_sel:DWORD dst_unused:UNUSED_PAD src0_sel:WORD_1 src1_sel:DWORD
	v_mul_u32_u24_sdwa v95, v65, v47 dst_sel:DWORD dst_unused:UNUSED_PAD src0_sel:WORD_0 src1_sel:DWORD
	v_mul_u32_u24_sdwa v65, v65, v47 dst_sel:DWORD dst_unused:UNUSED_PAD src0_sel:WORD_1 src1_sel:DWORD
	v_pk_fma_f16 v69, v54, v97, v69
	v_pk_fma_f16 v54, v54, v59, v63
	s_waitcnt lgkmcnt(1)
	v_pk_fma_f16 v59, v5, v77, v75
	v_pk_fma_f16 v63, v5, v64, v68
	;; [unrolled: 1-line block ×16, first 2 shown]
	ds_read2_b64 v[5:8], v50 offset0:128 offset1:160
	s_waitcnt lgkmcnt(1)
	v_pk_fma_f16 v91, v55, v77, v93
	v_pk_fma_f16 v92, v55, v65, v51
	;; [unrolled: 1-line block ×5, first 2 shown]
	ds_read2_b64 v[50:53], v50 offset0:192 offset1:224
	v_pk_fma_f16 v84, v55, v64, v84
	v_pk_fma_f16 v87, v55, v95, v87
	;; [unrolled: 1-line block ×10, first 2 shown]
	v_mul_u32_u24_sdwa v71, v66, v47 dst_sel:DWORD dst_unused:UNUSED_PAD src0_sel:WORD_0 src1_sel:DWORD
	v_mul_u32_u24_sdwa v66, v66, v47 dst_sel:DWORD dst_unused:UNUSED_PAD src0_sel:WORD_1 src1_sel:DWORD
	v_mul_u32_u24_sdwa v77, v67, v47 dst_sel:DWORD dst_unused:UNUSED_PAD src0_sel:WORD_0 src1_sel:DWORD
	v_mul_u32_u24_sdwa v67, v67, v47 dst_sel:DWORD dst_unused:UNUSED_PAD src0_sel:WORD_1 src1_sel:DWORD
	v_pk_fma_f16 v95, v58, v65, v54
	ds_read_b128 v[54:57], v41 offset:992
	s_waitcnt lgkmcnt(2)
	v_pk_fma_f16 v97, v5, v71, v59
	v_pk_fma_f16 v98, v5, v66, v63
	;; [unrolled: 1-line block ×16, first 2 shown]
	ds_read2_b64 v[5:8], v49 offset1:32
	s_waitcnt lgkmcnt(2)
	v_pk_fma_f16 v91, v50, v71, v91
	v_pk_fma_f16 v84, v50, v66, v84
	;; [unrolled: 1-line block ×12, first 2 shown]
	ds_read2_b64 v[58:61], v49 offset0:64 offset1:96
	ds_read_b128 v[62:65], v41 offset:1008
	v_pk_fma_f16 v90, v52, v77, v90
	v_pk_fma_f16 v52, v52, v67, v96
	;; [unrolled: 1-line block ×3, first 2 shown]
	s_waitcnt lgkmcnt(3)
	v_mul_u32_u24_sdwa v77, v54, v47 dst_sel:DWORD dst_unused:UNUSED_PAD src0_sel:WORD_0 src1_sel:DWORD
	v_mul_u32_u24_sdwa v54, v54, v47 dst_sel:DWORD dst_unused:UNUSED_PAD src0_sel:WORD_1 src1_sel:DWORD
	v_mul_u32_u24_sdwa v96, v55, v47 dst_sel:DWORD dst_unused:UNUSED_PAD src0_sel:WORD_0 src1_sel:DWORD
	v_mul_u32_u24_sdwa v55, v55, v47 dst_sel:DWORD dst_unused:UNUSED_PAD src0_sel:WORD_1 src1_sel:DWORD
	v_pk_fma_f16 v53, v53, v67, v95
	s_waitcnt lgkmcnt(2)
	v_pk_fma_f16 v67, v5, v77, v97
	v_pk_fma_f16 v95, v5, v54, v98
	;; [unrolled: 1-line block ×16, first 2 shown]
	s_waitcnt lgkmcnt(1)
	v_pk_fma_f16 v91, v58, v77, v91
	v_pk_fma_f16 v84, v58, v54, v84
	ds_read2_b64 v[5:8], v49 offset0:128 offset1:160
	v_pk_fma_f16 v87, v58, v96, v87
	v_pk_fma_f16 v58, v58, v55, v50
	;; [unrolled: 1-line block ×10, first 2 shown]
	ds_read2_b64 v[49:52], v49 offset0:192 offset1:224
	v_pk_fma_f16 v71, v61, v77, v71
	v_pk_fma_f16 v54, v61, v54, v66
	;; [unrolled: 1-line block ×3, first 2 shown]
	v_mul_u32_u24_sdwa v69, v56, v47 dst_sel:DWORD dst_unused:UNUSED_PAD src0_sel:WORD_0 src1_sel:DWORD
	v_mul_u32_u24_sdwa v56, v56, v47 dst_sel:DWORD dst_unused:UNUSED_PAD src0_sel:WORD_1 src1_sel:DWORD
	v_mul_u32_u24_sdwa v77, v57, v47 dst_sel:DWORD dst_unused:UNUSED_PAD src0_sel:WORD_0 src1_sel:DWORD
	v_mul_u32_u24_sdwa v57, v57, v47 dst_sel:DWORD dst_unused:UNUSED_PAD src0_sel:WORD_1 src1_sel:DWORD
	v_pk_fma_f16 v61, v61, v55, v53
	s_waitcnt lgkmcnt(1)
	v_pk_fma_f16 v67, v5, v69, v67
	v_pk_fma_f16 v95, v5, v56, v95
	;; [unrolled: 1-line block ×16, first 2 shown]
	s_waitcnt lgkmcnt(0)
	v_pk_fma_f16 v91, v49, v69, v91
	v_pk_fma_f16 v84, v49, v56, v84
	ds_read2_b64 v[5:8], v48 offset1:32
	v_pk_fma_f16 v87, v49, v77, v87
	v_pk_fma_f16 v49, v49, v57, v58
	;; [unrolled: 1-line block ×12, first 2 shown]
	ds_read2_b64 v[53:56], v48 offset0:64 offset1:96
	v_pk_fma_f16 v66, v52, v77, v66
	v_mul_u32_u24_sdwa v71, v62, v47 dst_sel:DWORD dst_unused:UNUSED_PAD src0_sel:WORD_0 src1_sel:DWORD
	v_mul_u32_u24_sdwa v62, v62, v47 dst_sel:DWORD dst_unused:UNUSED_PAD src0_sel:WORD_1 src1_sel:DWORD
	v_mul_u32_u24_sdwa v77, v63, v47 dst_sel:DWORD dst_unused:UNUSED_PAD src0_sel:WORD_0 src1_sel:DWORD
	v_mul_u32_u24_sdwa v63, v63, v47 dst_sel:DWORD dst_unused:UNUSED_PAD src0_sel:WORD_1 src1_sel:DWORD
	v_pk_fma_f16 v52, v52, v57, v61
	s_waitcnt lgkmcnt(1)
	v_pk_fma_f16 v57, v5, v71, v67
	v_pk_fma_f16 v61, v5, v62, v95
	;; [unrolled: 1-line block ×16, first 2 shown]
	s_waitcnt lgkmcnt(0)
	v_pk_fma_f16 v97, v53, v62, v84
	ds_read2_b64 v[5:8], v48 offset0:128 offset1:160
	ds_read2_b64 v[81:84], v48 offset0:192 offset1:224
	s_waitcnt lgkmcnt(0)
	s_barrier
	buffer_gl0_inv
	s_load_dword s0, s[6:7], 0x4
	v_pk_fma_f16 v91, v53, v71, v91
	v_pk_fma_f16 v87, v53, v77, v87
	;; [unrolled: 1-line block ×15, first 2 shown]
	v_mul_u32_u24_sdwa v106, v64, v47 dst_sel:DWORD dst_unused:UNUSED_PAD src0_sel:WORD_0 src1_sel:DWORD
	v_mul_u32_u24_sdwa v107, v64, v47 dst_sel:DWORD dst_unused:UNUSED_PAD src0_sel:WORD_1 src1_sel:DWORD
	v_mul_u32_u24_sdwa v108, v65, v47 dst_sel:DWORD dst_unused:UNUSED_PAD src0_sel:WORD_0 src1_sel:DWORD
	v_mul_u32_u24_sdwa v109, v65, v47 dst_sel:DWORD dst_unused:UNUSED_PAD src0_sel:WORD_1 src1_sel:DWORD
	s_waitcnt lgkmcnt(0)
	s_lshl_b32 s0, s0, 7
	v_pk_fma_f16 v67, v5, v106, v57
	v_pk_fma_f16 v64, v5, v107, v61
	;; [unrolled: 1-line block ×32, first 2 shown]
	s_add_i32 s8, s0, s8
	s_cmp_ge_i32 s8, s34
	s_cbranch_scc1 .LBB25_87
; %bb.86:                               ;   in Loop: Header=BB25_17 Depth=1
	v_mov_b32_e32 v88, v1
	v_mov_b32_e32 v86, v2
	;; [unrolled: 1-line block ×8, first 2 shown]
	s_branch .LBB25_17
.LBB25_87:
	v_mov_b32_e32 v5, v35
.LBB25_88:
	v_cmp_lt_i32_e32 vcc_lo, v13, v34
	s_cmp_lg_u64 s[16:17], 0
	s_cselect_b32 s0, -1, 0
	s_cmp_eq_u32 s28, 0
	v_cndmask_b32_e32 v6, v5, v13, vcc_lo
	v_cmp_lt_i32_e32 vcc_lo, v12, v34
	s_cselect_b32 s1, -1, 0
	s_and_b32 s0, s1, s0
	v_lshlrev_b32_e32 v6, 2, v6
	v_cndmask_b32_e32 v12, v5, v12, vcc_lo
	v_cmp_lt_i32_e32 vcc_lo, v11, v34
	ds_bpermute_b32 v7, v6, v14
	ds_bpermute_b32 v8, v6, v15
	;; [unrolled: 1-line block ×4, first 2 shown]
	v_lshlrev_b32_e32 v12, 2, v12
	v_cndmask_b32_e32 v11, v5, v11, vcc_lo
	v_cmp_lt_i32_e32 vcc_lo, v10, v34
	v_lshlrev_b32_e32 v11, 2, v11
	v_cndmask_b32_e32 v10, v5, v10, vcc_lo
	v_cmp_lt_i32_e32 vcc_lo, v9, v34
	v_lshlrev_b32_e32 v10, 2, v10
	v_cndmask_b32_e32 v5, v5, v9, vcc_lo
	s_and_b32 vcc_lo, exec_lo, s0
	s_waitcnt lgkmcnt(3)
	v_add_f32_e32 v7, v14, v7
	s_waitcnt lgkmcnt(2)
	v_add_f32_e32 v8, v15, v8
	;; [unrolled: 2-line block ×4, first 2 shown]
	v_lshlrev_b32_e32 v5, 2, v5
	ds_bpermute_b32 v14, v12, v7
	ds_bpermute_b32 v15, v12, v8
	ds_bpermute_b32 v16, v12, v13
	ds_bpermute_b32 v12, v12, v6
	s_waitcnt lgkmcnt(3)
	v_add_f32_e32 v7, v7, v14
	s_waitcnt lgkmcnt(2)
	v_add_f32_e32 v8, v8, v15
	s_waitcnt lgkmcnt(1)
	v_add_f32_e32 v13, v13, v16
	s_waitcnt lgkmcnt(0)
	v_add_f32_e32 v6, v6, v12
	ds_bpermute_b32 v12, v11, v7
	ds_bpermute_b32 v14, v11, v8
	ds_bpermute_b32 v15, v11, v13
	ds_bpermute_b32 v11, v11, v6
	s_waitcnt lgkmcnt(3)
	v_add_f32_e32 v7, v7, v12
	s_waitcnt lgkmcnt(2)
	v_add_f32_e32 v8, v8, v14
	s_waitcnt lgkmcnt(1)
	v_add_f32_e32 v12, v13, v15
	s_waitcnt lgkmcnt(0)
	v_add_f32_e32 v6, v6, v11
	;; [unrolled: 12-line block ×4, first 2 shown]
	s_cbranch_vccz .LBB25_91
; %bb.89:
	s_ashr_i32 s31, s30, 31
	v_mov_b32_e32 v9, 0
	s_lshl_b64 s[0:1], s[30:31], 2
	v_max_f32_e32 v13, v1, v1
	s_add_u32 s0, s16, s0
	s_addc_u32 s1, s17, s1
	v_max_f32_e32 v14, v2, v2
	global_load_dwordx4 v[9:12], v9, s[0:1]
	v_max_f32_e32 v15, v3, v3
	v_max_f32_e32 v18, v4, v4
	v_mov_b32_e32 v22, 0x10001
	s_waitcnt vmcnt(0)
	v_max_f32_e32 v16, v9, v9
	v_max_f32_e32 v19, v10, v10
	;; [unrolled: 1-line block ×8, first 2 shown]
	v_sub_f32_e32 v18, v1, v13
	v_sub_f32_e32 v19, v2, v14
	;; [unrolled: 1-line block ×4, first 2 shown]
	v_mov_b32_e32 v1, v13
	v_sub_f32_e32 v9, v9, v13
	v_mov_b32_e32 v2, v14
	v_mov_b32_e32 v3, v15
	;; [unrolled: 1-line block ×3, first 2 shown]
	v_mul_f32_e32 v13, 0x3fb8aa3b, v18
	v_sub_f32_e32 v10, v10, v14
	v_mul_f32_e32 v14, 0x3fb8aa3b, v9
	v_sub_f32_e32 v11, v11, v15
	v_mul_f32_e32 v15, 0x3fb8aa3b, v19
	v_fma_f32 v27, 0x3fb8aa3b, v18, -v13
	v_rndne_f32_e32 v28, v13
	v_fma_f32 v29, 0x3fb8aa3b, v9, -v14
	v_rndne_f32_e32 v30, v14
	v_sub_f32_e32 v12, v12, v16
	v_fmac_f32_e32 v27, 0x32a5705f, v18
	v_sub_f32_e32 v13, v13, v28
	v_mul_f32_e32 v16, 0x3fb8aa3b, v10
	v_fma_f32 v32, 0x3fb8aa3b, v19, -v15
	v_rndne_f32_e32 v33, v15
	v_fmac_f32_e32 v29, 0x32a5705f, v9
	v_sub_f32_e32 v14, v14, v30
	v_add_f32_e32 v13, v13, v27
	v_mul_f32_e32 v23, 0x3fb8aa3b, v20
	v_fma_f32 v34, 0x3fb8aa3b, v10, -v16
	v_rndne_f32_e32 v35, v16
	v_fmac_f32_e32 v32, 0x32a5705f, v19
	v_sub_f32_e32 v15, v15, v33
	v_add_f32_e32 v14, v14, v29
	v_exp_f32_e32 v13, v13
	v_mul_f32_e32 v24, 0x3fb8aa3b, v11
	v_fma_f32 v36, 0x3fb8aa3b, v20, -v23
	v_rndne_f32_e32 v37, v23
	v_cvt_i32_f32_e32 v28, v28
	v_fmac_f32_e32 v34, 0x32a5705f, v10
	v_sub_f32_e32 v16, v16, v35
	v_add_f32_e32 v15, v15, v32
	v_exp_f32_e32 v14, v14
	v_mul_f32_e32 v25, 0x3fb8aa3b, v21
	v_fma_f32 v38, 0x3fb8aa3b, v11, -v24
	v_rndne_f32_e32 v39, v24
	v_cvt_i32_f32_e32 v30, v30
	v_fmac_f32_e32 v36, 0x32a5705f, v20
	v_sub_f32_e32 v23, v23, v37
	v_add_f32_e32 v16, v16, v34
	v_exp_f32_e32 v15, v15
	v_ldexp_f32 v13, v13, v28
	v_cmp_ngt_f32_e32 vcc_lo, 0xc2ce8ed0, v18
	v_mul_f32_e32 v26, 0x3fb8aa3b, v12
	v_fma_f32 v40, 0x3fb8aa3b, v21, -v25
	v_rndne_f32_e32 v41, v25
	v_cvt_i32_f32_e32 v33, v33
	v_fmac_f32_e32 v38, 0x32a5705f, v11
	v_sub_f32_e32 v24, v24, v39
	v_add_f32_e32 v23, v23, v36
	v_exp_f32_e32 v16, v16
	v_ldexp_f32 v14, v14, v30
	v_cndmask_b32_e32 v13, 0, v13, vcc_lo
	v_cmp_ngt_f32_e32 vcc_lo, 0xc2ce8ed0, v9
	v_fma_f32 v42, 0x3fb8aa3b, v12, -v26
	v_rndne_f32_e32 v43, v26
	v_cvt_i32_f32_e32 v35, v35
	v_fmac_f32_e32 v40, 0x32a5705f, v21
	v_sub_f32_e32 v25, v25, v41
	v_add_f32_e32 v24, v24, v38
	v_exp_f32_e32 v23, v23
	v_ldexp_f32 v15, v15, v33
	v_cndmask_b32_e32 v14, 0, v14, vcc_lo
	v_cmp_ngt_f32_e32 vcc_lo, 0xc2ce8ed0, v19
	v_cvt_i32_f32_e32 v37, v37
	v_fmac_f32_e32 v42, 0x32a5705f, v12
	v_sub_f32_e32 v26, v26, v43
	v_add_f32_e32 v25, v25, v40
	v_exp_f32_e32 v24, v24
	v_ldexp_f32 v16, v16, v35
	v_cndmask_b32_e32 v15, 0, v15, vcc_lo
	v_cmp_ngt_f32_e32 vcc_lo, 0xc2ce8ed0, v10
	v_cvt_i32_f32_e32 v39, v39
	v_add_f32_e32 v26, v26, v42
	v_exp_f32_e32 v25, v25
	v_ldexp_f32 v23, v23, v37
	v_cndmask_b32_e32 v16, 0, v16, vcc_lo
	v_cmp_ngt_f32_e32 vcc_lo, 0xc2ce8ed0, v20
	v_exp_f32_e32 v26, v26
	v_cvt_i32_f32_e32 v27, v41
	v_ldexp_f32 v24, v24, v39
	v_cvt_i32_f32_e32 v29, v43
	v_cndmask_b32_e32 v23, 0, v23, vcc_lo
	v_cmp_ngt_f32_e32 vcc_lo, 0xc2ce8ed0, v11
	v_ldexp_f32 v25, v25, v27
	v_cndmask_b32_e32 v24, 0, v24, vcc_lo
	v_cmp_ngt_f32_e32 vcc_lo, 0xc2ce8ed0, v21
	v_ldexp_f32 v26, v26, v29
	v_cndmask_b32_e32 v25, 0, v25, vcc_lo
	v_cmp_ngt_f32_e32 vcc_lo, 0xc2ce8ed0, v12
	v_cndmask_b32_e32 v26, 0, v26, vcc_lo
	v_cmp_nlt_f32_e32 vcc_lo, 0x42b17218, v18
	v_cndmask_b32_e32 v13, 0x7f800000, v13, vcc_lo
	v_cmp_nlt_f32_e32 vcc_lo, 0x42b17218, v9
	;; [unrolled: 2-line block ×3, first 2 shown]
	v_fmac_f32_e32 v9, v5, v13
	v_cndmask_b32_e32 v14, 0x7f800000, v15, vcc_lo
	v_cmp_nlt_f32_e32 vcc_lo, 0x42b17218, v10
	v_cvt_f16_f32_e32 v5, v13
	v_cndmask_b32_e32 v10, 0x7f800000, v16, vcc_lo
	v_cmp_nlt_f32_e32 vcc_lo, 0x42b17218, v20
	v_fmac_f32_e32 v10, v6, v14
	v_cndmask_b32_e32 v15, 0x7f800000, v23, vcc_lo
	v_cmp_nlt_f32_e32 vcc_lo, 0x42b17218, v11
	v_cvt_f16_f32_e32 v6, v14
	v_cndmask_b32_e32 v11, 0x7f800000, v24, vcc_lo
	v_cmp_nlt_f32_e32 vcc_lo, 0x42b17218, v21
	v_mul_u32_u24_sdwa v14, v6, v22 dst_sel:DWORD dst_unused:UNUSED_PAD src0_sel:WORD_0 src1_sel:DWORD
	v_mov_b32_e32 v6, v10
	v_fmac_f32_e32 v11, v7, v15
	v_cndmask_b32_e32 v16, 0x7f800000, v25, vcc_lo
	v_cmp_nlt_f32_e32 vcc_lo, 0x42b17218, v12
	v_cvt_f16_f32_e32 v7, v15
	v_pk_mul_f16 v64, v64, v14
	v_pk_mul_f16 v72, v72, v14
	v_cvt_f16_f32_e32 v13, v16
	v_cndmask_b32_e32 v12, 0x7f800000, v26, vcc_lo
	v_mul_u32_u24_sdwa v15, v7, v22 dst_sel:DWORD dst_unused:UNUSED_PAD src0_sel:WORD_0 src1_sel:DWORD
	v_mov_b32_e32 v7, v11
	v_pk_mul_f16 v69, v69, v14
	v_mul_u32_u24_sdwa v13, v13, v22 dst_sel:DWORD dst_unused:UNUSED_PAD src0_sel:WORD_0 src1_sel:DWORD
	v_fmac_f32_e32 v12, v8, v16
	v_mul_u32_u24_sdwa v8, v5, v22 dst_sel:DWORD dst_unused:UNUSED_PAD src0_sel:WORD_0 src1_sel:DWORD
	v_mov_b32_e32 v5, v9
	v_pk_mul_f16 v71, v71, v14
	v_pk_mul_f16 v68, v68, v14
	;; [unrolled: 1-line block ×29, first 2 shown]
	v_mov_b32_e32 v8, v12
	s_mov_b32 s0, exec_lo
	v_cmpx_gt_i32_e64 s2, v17
	s_cbranch_execnz .LBB25_92
.LBB25_90:
	s_endpgm
.LBB25_91:
	v_mov_b32_e32 v12, v8
	v_mov_b32_e32 v11, v7
	v_mov_b32_e32 v10, v6
	v_mov_b32_e32 v9, v5
	s_mov_b32 s0, exec_lo
	v_cmpx_gt_i32_e64 s2, v17
	s_cbranch_execz .LBB25_90
.LBB25_92:
	s_load_dword s1, s[4:5], 0xd4
	v_mov_b32_e32 v15, 1.0
	s_waitcnt lgkmcnt(0)
	s_cmp_lg_u32 s1, 1
	s_cselect_b32 s5, -1, 0
	s_cmp_eq_u32 s1, 1
	s_cselect_b32 s4, -1, 0
	s_and_b32 vcc_lo, exec_lo, s5
	s_cbranch_vccnz .LBB25_94
; %bb.93:
	v_div_scale_f32 v13, null, v5, v5, 1.0
	v_rcp_f32_e32 v14, v13
	v_fma_f32 v15, -v13, v14, 1.0
	v_fmac_f32_e32 v14, v15, v14
	v_div_scale_f32 v15, vcc_lo, 1.0, v5, 1.0
	v_mul_f32_e32 v16, v15, v14
	v_fma_f32 v18, -v13, v16, v15
	v_fmac_f32_e32 v16, v18, v14
	v_fma_f32 v13, -v13, v16, v15
	v_div_fmas_f32 v13, v13, v14, v16
	v_div_fixup_f32 v15, v13, v5, 1.0
.LBB25_94:
	v_mad_u64_u32 v[13:14], null, s29, s2, v[17:18]
	v_mov_b32_e32 v29, 0
	v_cvt_f32_f16_sdwa v21, v79 dst_sel:DWORD dst_unused:UNUSED_PAD src0_sel:WORD_1
	v_cvt_f32_f16_sdwa v24, v76 dst_sel:DWORD dst_unused:UNUSED_PAD src0_sel:WORD_1
	v_cmp_eq_u32_e32 vcc_lo, 0, v0
	v_cvt_f32_f16_sdwa v0, v78 dst_sel:DWORD dst_unused:UNUSED_PAD src0_sel:WORD_1
	v_mov_b32_e32 v25, v29
	v_mad_u64_u32 v[13:14], null, v13, s3, s[30:31]
	v_mul_f32_e32 v23, v15, v21
	v_mul_f32_e32 v21, v15, v24
	v_cvt_f32_f16_e32 v5, v78
	v_mov_b32_e32 v33, v29
	v_cvt_f32_f16_sdwa v16, v67 dst_sel:DWORD dst_unused:UNUSED_PAD src0_sel:WORD_1
	v_cvt_f32_f16_e32 v20, v67
	v_mad_u64_u32 v[13:14], null, s1, v13, s[28:29]
	v_cvt_f32_f16_e32 v14, v76
	v_cvt_f32_f16_sdwa v30, v77 dst_sel:DWORD dst_unused:UNUSED_PAD src0_sel:WORD_1
	v_mul_f32_e32 v19, v15, v0
	v_mul_f32_e32 v18, v15, v5
	v_cvt_f32_f16_sdwa v0, v75 dst_sel:DWORD dst_unused:UNUSED_PAD src0_sel:WORD_1
	v_cvt_f32_f16_e32 v5, v75
	v_lshl_add_u32 v28, v13, 9, v31
	v_cvt_f32_f16_e32 v22, v79
	v_mul_f32_e32 v17, v15, v16
	v_mul_f32_e32 v16, v15, v20
	;; [unrolled: 1-line block ×3, first 2 shown]
	v_add_nc_u32_e32 v24, 0x80, v28
	v_lshlrev_b64 v[26:27], 2, v[28:29]
	v_add_nc_u32_e32 v32, 0x100, v28
	v_add_nc_u32_e32 v28, 0x180, v28
	v_cvt_f32_f16_sdwa v14, v73 dst_sel:DWORD dst_unused:UNUSED_PAD src0_sel:WORD_1
	v_lshlrev_b64 v[24:25], 2, v[24:25]
	v_cvt_f32_f16_e32 v34, v77
	v_lshlrev_b64 v[32:33], 2, v[32:33]
	v_add_co_u32 v36, s0, s20, v26
	v_lshlrev_b64 v[28:29], 2, v[28:29]
	v_add_co_ci_u32_e64 v37, null, s21, v27, s0
	v_add_co_u32 v38, s0, s20, v24
	v_add_co_ci_u32_e64 v39, null, s21, v25, s0
	v_mul_f32_e32 v27, v15, v30
	v_mul_f32_e32 v25, v15, v0
	;; [unrolled: 1-line block ×3, first 2 shown]
	v_cvt_f32_f16_sdwa v0, v74 dst_sel:DWORD dst_unused:UNUSED_PAD src0_sel:WORD_1
	v_cvt_f32_f16_e32 v5, v74
	v_cvt_f32_f16_e32 v30, v73
	v_add_co_u32 v40, s0, s20, v32
	v_mul_f32_e32 v22, v15, v22
	v_add_co_ci_u32_e64 v41, null, s21, v33, s0
	v_mul_f32_e32 v33, v15, v14
	v_add_co_u32 v14, s0, s20, v28
	v_mul_f32_e32 v26, v15, v34
	v_mul_f32_e32 v35, v15, v0
	;; [unrolled: 1-line block ×4, first 2 shown]
	v_add_co_ci_u32_e64 v15, null, s21, v29, s0
	s_and_b32 s0, vcc_lo, s5
	global_store_dwordx4 v[36:37], v[16:19], off
	global_store_dwordx4 v[38:39], v[20:23], off
	;; [unrolled: 1-line block ×4, first 2 shown]
	s_and_saveexec_b32 s2, s0
	s_cbranch_execz .LBB25_96
; %bb.95:
	v_ashrrev_i32_e32 v14, 31, v13
	v_mov_b32_e32 v0, v1
	v_mov_b32_e32 v1, v9
	v_lshlrev_b64 v[14:15], 3, v[13:14]
	v_add_co_u32 v14, vcc_lo, s22, v14
	v_add_co_ci_u32_e64 v15, null, s23, v15, vcc_lo
	global_store_dwordx2 v[14:15], v[0:1], off
.LBB25_96:
	s_or_b32 exec_lo, exec_lo, s2
	v_cndmask_b32_e64 v5, 0, 1, s4
	v_mov_b32_e32 v1, 1.0
	s_andn2_b32 vcc_lo, exec_lo, s4
	s_cbranch_vccnz .LBB25_98
; %bb.97:
	v_div_scale_f32 v0, null, v6, v6, 1.0
	v_rcp_f32_e32 v1, v0
	v_fma_f32 v9, -v0, v1, 1.0
	v_fmac_f32_e32 v1, v9, v1
	v_div_scale_f32 v9, vcc_lo, 1.0, v6, 1.0
	v_mul_f32_e32 v14, v9, v1
	v_fma_f32 v15, -v0, v14, v9
	v_fmac_f32_e32 v14, v15, v1
	v_fma_f32 v0, -v0, v14, v9
	v_div_fmas_f32 v0, v0, v1, v14
	v_div_fixup_f32 v1, v0, v6, 1.0
.LBB25_98:
	v_add_nc_u32_e32 v0, s1, v13
	v_mov_b32_e32 v26, 0
	v_cvt_f32_f16_sdwa v13, v64 dst_sel:DWORD dst_unused:UNUSED_PAD src0_sel:WORD_1
	v_cvt_f32_f16_e32 v19, v64
	v_cvt_f32_f16_sdwa v6, v72 dst_sel:DWORD dst_unused:UNUSED_PAD src0_sel:WORD_1
	v_lshl_add_u32 v25, v0, 9, v31
	v_mov_b32_e32 v20, v26
	v_mul_f32_e32 v14, v1, v13
	v_mul_f32_e32 v13, v1, v19
	v_cvt_f32_f16_e32 v9, v72
	v_add_nc_u32_e32 v19, 0x80, v25
	v_lshlrev_b64 v[17:18], 2, v[25:26]
	v_mul_f32_e32 v16, v1, v6
	v_cvt_f32_f16_sdwa v6, v71 dst_sel:DWORD dst_unused:UNUSED_PAD src0_sel:WORD_1
	v_mul_f32_e32 v15, v1, v9
	v_lshlrev_b64 v[21:22], 2, v[19:20]
	v_cvt_f32_f16_e32 v9, v71
	v_add_co_u32 v29, vcc_lo, s20, v17
	v_add_co_ci_u32_e64 v30, null, s21, v18, vcc_lo
	v_add_co_u32 v32, vcc_lo, s20, v21
	v_add_co_ci_u32_e64 v33, null, s21, v22, vcc_lo
	v_add_nc_u32_e32 v21, 0x100, v25
	v_mov_b32_e32 v22, v26
	v_add_nc_u32_e32 v25, 0x180, v25
	v_cvt_f32_f16_sdwa v17, v69 dst_sel:DWORD dst_unused:UNUSED_PAD src0_sel:WORD_1
	v_cvt_f32_f16_e32 v23, v69
	v_mul_f32_e32 v20, v1, v6
	v_mul_f32_e32 v19, v1, v9
	v_cvt_f32_f16_sdwa v6, v70 dst_sel:DWORD dst_unused:UNUSED_PAD src0_sel:WORD_1
	v_cvt_f32_f16_e32 v9, v70
	v_lshlrev_b64 v[27:28], 2, v[21:22]
	v_cvt_f32_f16_sdwa v34, v68 dst_sel:DWORD dst_unused:UNUSED_PAD src0_sel:WORD_1
	v_lshlrev_b64 v[36:37], 2, v[25:26]
	v_cvt_f32_f16_e32 v35, v68
	v_mul_f32_e32 v18, v1, v17
	v_mul_f32_e32 v17, v1, v23
	;; [unrolled: 1-line block ×4, first 2 shown]
	v_cvt_f32_f16_sdwa v6, v65 dst_sel:DWORD dst_unused:UNUSED_PAD src0_sel:WORD_1
	v_cvt_f32_f16_e32 v9, v65
	v_cvt_f32_f16_sdwa v38, v66 dst_sel:DWORD dst_unused:UNUSED_PAD src0_sel:WORD_1
	v_cvt_f32_f16_e32 v39, v66
	v_mul_f32_e32 v22, v1, v34
	v_add_co_u32 v34, vcc_lo, s20, v27
	v_mul_f32_e32 v21, v1, v35
	v_add_co_ci_u32_e64 v35, null, s21, v28, vcc_lo
	v_add_co_u32 v36, vcc_lo, s20, v36
	v_mul_f32_e32 v28, v1, v6
	v_mul_f32_e32 v27, v1, v9
	;; [unrolled: 1-line block ×4, first 2 shown]
	v_add_co_ci_u32_e64 v37, null, s21, v37, vcc_lo
	global_store_dwordx4 v[29:30], v[13:16], off
	global_store_dwordx4 v[32:33], v[17:20], off
	;; [unrolled: 1-line block ×4, first 2 shown]
	s_and_saveexec_b32 s2, s0
	s_cbranch_execz .LBB25_100
; %bb.99:
	v_ashrrev_i32_e32 v1, 31, v0
	v_mov_b32_e32 v9, v2
	v_lshlrev_b64 v[13:14], 3, v[0:1]
	v_add_co_u32 v13, vcc_lo, s22, v13
	v_add_co_ci_u32_e64 v14, null, s23, v14, vcc_lo
	global_store_dwordx2 v[13:14], v[9:10], off
.LBB25_100:
	s_or_b32 exec_lo, exec_lo, s2
	v_cmp_ne_u32_e32 vcc_lo, 1, v5
	v_mov_b32_e32 v1, 1.0
	s_cbranch_vccnz .LBB25_102
; %bb.101:
	v_div_scale_f32 v1, null, v7, v7, 1.0
	v_rcp_f32_e32 v2, v1
	v_fma_f32 v6, -v1, v2, 1.0
	v_fmac_f32_e32 v2, v6, v2
	v_div_scale_f32 v6, vcc_lo, 1.0, v7, 1.0
	v_mul_f32_e32 v9, v6, v2
	v_fma_f32 v10, -v1, v9, v6
	v_fmac_f32_e32 v9, v10, v2
	v_fma_f32 v1, -v1, v9, v6
	v_div_fmas_f32 v1, v1, v2, v9
	v_div_fixup_f32 v1, v1, v7, 1.0
.LBB25_102:
	v_add_nc_u32_e32 v0, s1, v0
	v_mov_b32_e32 v7, 0
	v_cvt_f32_f16_e32 v13, v63
	v_cvt_f32_f16_e32 v17, v58
	v_cvt_f32_f16_sdwa v2, v63 dst_sel:DWORD dst_unused:UNUSED_PAD src0_sel:WORD_1
	v_lshl_add_u32 v6, v0, 9, v31
	v_mov_b32_e32 v18, v7
	v_mul_f32_e32 v15, v1, v13
	v_mul_f32_e32 v13, v1, v17
	v_mul_f32_e32 v16, v1, v2
	v_add_nc_u32_e32 v17, 0x80, v6
	v_lshlrev_b64 v[9:10], 2, v[6:7]
	v_cvt_f32_f16_sdwa v2, v61 dst_sel:DWORD dst_unused:UNUSED_PAD src0_sel:WORD_1
	v_cvt_f32_f16_sdwa v23, v62 dst_sel:DWORD dst_unused:UNUSED_PAD src0_sel:WORD_1
	v_cvt_f32_f16_e32 v24, v62
	v_lshlrev_b64 v[21:22], 2, v[17:18]
	v_cvt_f32_f16_sdwa v14, v58 dst_sel:DWORD dst_unused:UNUSED_PAD src0_sel:WORD_1
	v_add_co_u32 v9, vcc_lo, s20, v9
	v_add_co_ci_u32_e64 v10, null, s21, v10, vcc_lo
	v_add_co_u32 v29, vcc_lo, s20, v21
	v_add_co_ci_u32_e64 v30, null, s21, v22, vcc_lo
	v_add_nc_u32_e32 v21, 0x100, v6
	v_mov_b32_e32 v22, v7
	v_add_nc_u32_e32 v6, 0x180, v6
	v_mul_f32_e32 v20, v1, v2
	v_cvt_f32_f16_sdwa v2, v60 dst_sel:DWORD dst_unused:UNUSED_PAD src0_sel:WORD_1
	v_cvt_f32_f16_e32 v19, v61
	v_lshlrev_b64 v[25:26], 2, v[21:22]
	v_lshlrev_b64 v[6:7], 2, v[6:7]
	v_mul_f32_e32 v18, v1, v23
	v_mul_f32_e32 v17, v1, v24
	v_cvt_f32_f16_e32 v23, v60
	v_cvt_f32_f16_sdwa v27, v59 dst_sel:DWORD dst_unused:UNUSED_PAD src0_sel:WORD_1
	v_add_co_u32 v32, vcc_lo, s20, v25
	v_cvt_f32_f16_e32 v28, v59
	v_mul_f32_e32 v24, v1, v2
	v_add_co_ci_u32_e64 v33, null, s21, v26, vcc_lo
	v_cvt_f32_f16_sdwa v2, v57 dst_sel:DWORD dst_unused:UNUSED_PAD src0_sel:WORD_1
	v_cvt_f32_f16_e32 v25, v57
	v_cvt_f32_f16_sdwa v26, v56 dst_sel:DWORD dst_unused:UNUSED_PAD src0_sel:WORD_1
	v_cvt_f32_f16_e32 v34, v56
	v_mul_f32_e32 v14, v1, v14
	v_mul_f32_e32 v19, v1, v19
	;; [unrolled: 1-line block ×9, first 2 shown]
	v_add_co_u32 v1, vcc_lo, s20, v6
	v_add_co_ci_u32_e64 v2, null, s21, v7, vcc_lo
	global_store_dwordx4 v[9:10], v[13:16], off
	global_store_dwordx4 v[29:30], v[17:20], off
	;; [unrolled: 1-line block ×4, first 2 shown]
	s_and_saveexec_b32 s2, s0
	s_cbranch_execz .LBB25_104
; %bb.103:
	v_ashrrev_i32_e32 v1, 31, v0
	v_mov_b32_e32 v10, v3
	v_lshlrev_b64 v[1:2], 3, v[0:1]
	v_add_co_u32 v1, vcc_lo, s22, v1
	v_add_co_ci_u32_e64 v2, null, s23, v2, vcc_lo
	global_store_dwordx2 v[1:2], v[10:11], off
.LBB25_104:
	s_or_b32 exec_lo, exec_lo, s2
	v_cmp_ne_u32_e32 vcc_lo, 1, v5
	v_mov_b32_e32 v1, 1.0
	s_cbranch_vccnz .LBB25_106
; %bb.105:
	v_div_scale_f32 v1, null, v8, v8, 1.0
	v_rcp_f32_e32 v2, v1
	v_fma_f32 v3, -v1, v2, 1.0
	v_fmac_f32_e32 v2, v3, v2
	v_div_scale_f32 v3, vcc_lo, 1.0, v8, 1.0
	v_mul_f32_e32 v5, v3, v2
	v_fma_f32 v6, -v1, v5, v3
	v_fmac_f32_e32 v5, v6, v2
	v_fma_f32 v1, -v1, v5, v3
	v_div_fmas_f32 v1, v1, v2, v5
	v_div_fixup_f32 v1, v1, v8, 1.0
.LBB25_106:
	v_add_nc_u32_e32 v0, s1, v0
	v_cvt_f32_f16_sdwa v5, v55 dst_sel:DWORD dst_unused:UNUSED_PAD src0_sel:WORD_1
	v_mov_b32_e32 v3, 0
	v_cvt_f32_f16_e32 v13, v53
	v_cvt_f32_f16_e32 v6, v55
	v_lshl_add_u32 v2, v0, 9, v31
	v_mul_f32_e32 v8, v1, v5
	v_mov_b32_e32 v14, v3
	v_mul_f32_e32 v5, v1, v13
	v_cvt_f32_f16_sdwa v11, v53 dst_sel:DWORD dst_unused:UNUSED_PAD src0_sel:WORD_1
	v_add_nc_u32_e32 v13, 0x80, v2
	v_lshlrev_b64 v[9:10], 2, v[2:3]
	v_mul_f32_e32 v7, v1, v6
	v_cvt_f32_f16_sdwa v19, v50 dst_sel:DWORD dst_unused:UNUSED_PAD src0_sel:WORD_1
	v_mul_f32_e32 v6, v1, v11
	v_lshlrev_b64 v[17:18], 2, v[13:14]
	v_cvt_f32_f16_sdwa v11, v54 dst_sel:DWORD dst_unused:UNUSED_PAD src0_sel:WORD_1
	v_add_co_u32 v9, vcc_lo, s20, v9
	v_add_co_ci_u32_e64 v10, null, s21, v10, vcc_lo
	v_add_co_u32 v25, vcc_lo, s20, v17
	v_add_co_ci_u32_e64 v26, null, s21, v18, vcc_lo
	v_add_nc_u32_e32 v17, 0x100, v2
	v_mov_b32_e32 v18, v3
	v_add_nc_u32_e32 v2, 0x180, v2
	v_cvt_f32_f16_e32 v20, v50
	v_mul_f32_e32 v16, v1, v11
	v_cvt_f32_f16_sdwa v11, v52 dst_sel:DWORD dst_unused:UNUSED_PAD src0_sel:WORD_1
	v_lshlrev_b64 v[21:22], 2, v[17:18]
	v_lshlrev_b64 v[2:3], 2, v[2:3]
	v_cvt_f32_f16_e32 v15, v54
	v_mul_f32_e32 v14, v1, v19
	v_mul_f32_e32 v13, v1, v20
	v_cvt_f32_f16_e32 v19, v52
	v_add_co_u32 v27, vcc_lo, s20, v21
	v_cvt_f32_f16_sdwa v23, v51 dst_sel:DWORD dst_unused:UNUSED_PAD src0_sel:WORD_1
	v_cvt_f32_f16_e32 v24, v51
	v_mul_f32_e32 v20, v1, v11
	v_add_co_ci_u32_e64 v28, null, s21, v22, vcc_lo
	v_cvt_f32_f16_sdwa v11, v48 dst_sel:DWORD dst_unused:UNUSED_PAD src0_sel:WORD_1
	v_cvt_f32_f16_e32 v21, v48
	v_cvt_f32_f16_sdwa v22, v49 dst_sel:DWORD dst_unused:UNUSED_PAD src0_sel:WORD_1
	v_cvt_f32_f16_e32 v29, v49
	v_mul_f32_e32 v15, v1, v15
	v_mul_f32_e32 v19, v1, v19
	;; [unrolled: 1-line block ×8, first 2 shown]
	v_add_co_u32 v1, vcc_lo, s20, v2
	v_add_co_ci_u32_e64 v2, null, s21, v3, vcc_lo
	global_store_dwordx4 v[9:10], v[5:8], off
	global_store_dwordx4 v[25:26], v[13:16], off
	global_store_dwordx4 v[27:28], v[17:20], off
	global_store_dwordx4 v[1:2], v[21:24], off
	s_and_b32 exec_lo, exec_lo, s0
	s_cbranch_execz .LBB25_90
; %bb.107:
	v_ashrrev_i32_e32 v1, 31, v0
	v_mov_b32_e32 v11, v4
	v_lshlrev_b64 v[0:1], 3, v[0:1]
	v_add_co_u32 v0, vcc_lo, s22, v0
	v_add_co_ci_u32_e64 v1, null, s23, v1, vcc_lo
	global_store_dwordx2 v[0:1], v[11:12], off
	s_endpgm
	.section	.rodata,"a",@progbits
	.p2align	6, 0x0
	.amdhsa_kernel _ZL15flash_attn_tileILi576ELi512ELi8ELi4ELb1EEvPKcS1_S1_S1_S1_PKiPfP15HIP_vector_typeIfLj2EEffffjfiS5_IjLj3EEiiiiiiiiiiiliiliiiiil
		.amdhsa_group_segment_fixed_size 63488
		.amdhsa_private_segment_fixed_size 0
		.amdhsa_kernarg_size 464
		.amdhsa_user_sgpr_count 6
		.amdhsa_user_sgpr_private_segment_buffer 1
		.amdhsa_user_sgpr_dispatch_ptr 0
		.amdhsa_user_sgpr_queue_ptr 0
		.amdhsa_user_sgpr_kernarg_segment_ptr 1
		.amdhsa_user_sgpr_dispatch_id 0
		.amdhsa_user_sgpr_flat_scratch_init 0
		.amdhsa_user_sgpr_private_segment_size 0
		.amdhsa_wavefront_size32 1
		.amdhsa_uses_dynamic_stack 0
		.amdhsa_system_sgpr_private_segment_wavefront_offset 0
		.amdhsa_system_sgpr_workgroup_id_x 1
		.amdhsa_system_sgpr_workgroup_id_y 1
		.amdhsa_system_sgpr_workgroup_id_z 1
		.amdhsa_system_sgpr_workgroup_info 0
		.amdhsa_system_vgpr_workitem_id 1
		.amdhsa_next_free_vgpr 202
		.amdhsa_next_free_sgpr 41
		.amdhsa_reserve_vcc 1
		.amdhsa_reserve_flat_scratch 0
		.amdhsa_float_round_mode_32 0
		.amdhsa_float_round_mode_16_64 0
		.amdhsa_float_denorm_mode_32 3
		.amdhsa_float_denorm_mode_16_64 3
		.amdhsa_dx10_clamp 1
		.amdhsa_ieee_mode 1
		.amdhsa_fp16_overflow 0
		.amdhsa_workgroup_processor_mode 1
		.amdhsa_memory_ordered 1
		.amdhsa_forward_progress 1
		.amdhsa_shared_vgpr_count 0
		.amdhsa_exception_fp_ieee_invalid_op 0
		.amdhsa_exception_fp_denorm_src 0
		.amdhsa_exception_fp_ieee_div_zero 0
		.amdhsa_exception_fp_ieee_overflow 0
		.amdhsa_exception_fp_ieee_underflow 0
		.amdhsa_exception_fp_ieee_inexact 0
		.amdhsa_exception_int_div_zero 0
	.end_amdhsa_kernel
	.section	.text._ZL15flash_attn_tileILi576ELi512ELi8ELi4ELb1EEvPKcS1_S1_S1_S1_PKiPfP15HIP_vector_typeIfLj2EEffffjfiS5_IjLj3EEiiiiiiiiiiiliiliiiiil,"axG",@progbits,_ZL15flash_attn_tileILi576ELi512ELi8ELi4ELb1EEvPKcS1_S1_S1_S1_PKiPfP15HIP_vector_typeIfLj2EEffffjfiS5_IjLj3EEiiiiiiiiiiiliiliiiiil,comdat
.Lfunc_end25:
	.size	_ZL15flash_attn_tileILi576ELi512ELi8ELi4ELb1EEvPKcS1_S1_S1_S1_PKiPfP15HIP_vector_typeIfLj2EEffffjfiS5_IjLj3EEiiiiiiiiiiiliiliiiiil, .Lfunc_end25-_ZL15flash_attn_tileILi576ELi512ELi8ELi4ELb1EEvPKcS1_S1_S1_S1_PKiPfP15HIP_vector_typeIfLj2EEffffjfiS5_IjLj3EEiiiiiiiiiiiliiliiiiil
                                        ; -- End function
	.set _ZL15flash_attn_tileILi576ELi512ELi8ELi4ELb1EEvPKcS1_S1_S1_S1_PKiPfP15HIP_vector_typeIfLj2EEffffjfiS5_IjLj3EEiiiiiiiiiiiliiliiiiil.num_vgpr, 202
	.set _ZL15flash_attn_tileILi576ELi512ELi8ELi4ELb1EEvPKcS1_S1_S1_S1_PKiPfP15HIP_vector_typeIfLj2EEffffjfiS5_IjLj3EEiiiiiiiiiiiliiliiiiil.num_agpr, 0
	.set _ZL15flash_attn_tileILi576ELi512ELi8ELi4ELb1EEvPKcS1_S1_S1_S1_PKiPfP15HIP_vector_typeIfLj2EEffffjfiS5_IjLj3EEiiiiiiiiiiiliiliiiiil.numbered_sgpr, 41
	.set _ZL15flash_attn_tileILi576ELi512ELi8ELi4ELb1EEvPKcS1_S1_S1_S1_PKiPfP15HIP_vector_typeIfLj2EEffffjfiS5_IjLj3EEiiiiiiiiiiiliiliiiiil.num_named_barrier, 0
	.set _ZL15flash_attn_tileILi576ELi512ELi8ELi4ELb1EEvPKcS1_S1_S1_S1_PKiPfP15HIP_vector_typeIfLj2EEffffjfiS5_IjLj3EEiiiiiiiiiiiliiliiiiil.private_seg_size, 0
	.set _ZL15flash_attn_tileILi576ELi512ELi8ELi4ELb1EEvPKcS1_S1_S1_S1_PKiPfP15HIP_vector_typeIfLj2EEffffjfiS5_IjLj3EEiiiiiiiiiiiliiliiiiil.uses_vcc, 1
	.set _ZL15flash_attn_tileILi576ELi512ELi8ELi4ELb1EEvPKcS1_S1_S1_S1_PKiPfP15HIP_vector_typeIfLj2EEffffjfiS5_IjLj3EEiiiiiiiiiiiliiliiiiil.uses_flat_scratch, 0
	.set _ZL15flash_attn_tileILi576ELi512ELi8ELi4ELb1EEvPKcS1_S1_S1_S1_PKiPfP15HIP_vector_typeIfLj2EEffffjfiS5_IjLj3EEiiiiiiiiiiiliiliiiiil.has_dyn_sized_stack, 0
	.set _ZL15flash_attn_tileILi576ELi512ELi8ELi4ELb1EEvPKcS1_S1_S1_S1_PKiPfP15HIP_vector_typeIfLj2EEffffjfiS5_IjLj3EEiiiiiiiiiiiliiliiiiil.has_recursion, 0
	.set _ZL15flash_attn_tileILi576ELi512ELi8ELi4ELb1EEvPKcS1_S1_S1_S1_PKiPfP15HIP_vector_typeIfLj2EEffffjfiS5_IjLj3EEiiiiiiiiiiiliiliiiiil.has_indirect_call, 0
	.section	.AMDGPU.csdata,"",@progbits
; Kernel info:
; codeLenInByte = 89428
; TotalNumSgprs: 43
; NumVgprs: 202
; ScratchSize: 0
; MemoryBound: 0
; FloatMode: 240
; IeeeMode: 1
; LDSByteSize: 63488 bytes/workgroup (compile time only)
; SGPRBlocks: 0
; VGPRBlocks: 25
; NumSGPRsForWavesPerEU: 43
; NumVGPRsForWavesPerEU: 202
; Occupancy: 4
; WaveLimiterHint : 1
; COMPUTE_PGM_RSRC2:SCRATCH_EN: 0
; COMPUTE_PGM_RSRC2:USER_SGPR: 6
; COMPUTE_PGM_RSRC2:TRAP_HANDLER: 0
; COMPUTE_PGM_RSRC2:TGID_X_EN: 1
; COMPUTE_PGM_RSRC2:TGID_Y_EN: 1
; COMPUTE_PGM_RSRC2:TGID_Z_EN: 1
; COMPUTE_PGM_RSRC2:TIDIG_COMP_CNT: 1
	.section	.text._ZL15flash_attn_tileILi576ELi512ELi4ELi4ELb1EEvPKcS1_S1_S1_S1_PKiPfP15HIP_vector_typeIfLj2EEffffjfiS5_IjLj3EEiiiiiiiiiiiliiliiiiil,"axG",@progbits,_ZL15flash_attn_tileILi576ELi512ELi4ELi4ELb1EEvPKcS1_S1_S1_S1_PKiPfP15HIP_vector_typeIfLj2EEffffjfiS5_IjLj3EEiiiiiiiiiiiliiliiiiil,comdat
	.globl	_ZL15flash_attn_tileILi576ELi512ELi4ELi4ELb1EEvPKcS1_S1_S1_S1_PKiPfP15HIP_vector_typeIfLj2EEffffjfiS5_IjLj3EEiiiiiiiiiiiliiliiiiil ; -- Begin function _ZL15flash_attn_tileILi576ELi512ELi4ELi4ELb1EEvPKcS1_S1_S1_S1_PKiPfP15HIP_vector_typeIfLj2EEffffjfiS5_IjLj3EEiiiiiiiiiiiliiliiiiil
	.p2align	8
	.type	_ZL15flash_attn_tileILi576ELi512ELi4ELi4ELb1EEvPKcS1_S1_S1_S1_PKiPfP15HIP_vector_typeIfLj2EEffffjfiS5_IjLj3EEiiiiiiiiiiiliiliiiiil,@function
_ZL15flash_attn_tileILi576ELi512ELi4ELi4ELb1EEvPKcS1_S1_S1_S1_PKiPfP15HIP_vector_typeIfLj2EEffffjfiS5_IjLj3EEiiiiiiiiiiiliiliiiiil: ; @_ZL15flash_attn_tileILi576ELi512ELi4ELi4ELb1EEvPKcS1_S1_S1_S1_PKiPfP15HIP_vector_typeIfLj2EEffffjfiS5_IjLj3EEiiiiiiiiiiiliiliiiiil
; %bb.0:
	s_clause 0x1
	s_load_dwordx4 s[0:3], s[4:5], 0x5c
	s_load_dwordx2 s[30:31], s[4:5], 0x80
	s_mov_b32 s28, s7
	s_mov_b64 s[34:35], 0
	s_waitcnt lgkmcnt(0)
	s_ashr_i32 s7, s3, 31
	s_lshr_b32 s7, s7, 30
	s_add_i32 s7, s3, s7
	s_ashr_i32 s7, s7, 2
	v_cvt_f32_u32_e32 v2, s7
	s_sub_i32 s10, 0, s7
	v_rcp_iflag_f32_e32 v2, v2
	v_mul_f32_e32 v2, 0x4f7ffffe, v2
	v_cvt_u32_f32_e32 v2, v2
	v_readfirstlane_b32 s9, v2
	s_mul_i32 s10, s10, s9
	s_mul_hi_u32 s10, s9, s10
	s_add_i32 s9, s9, s10
	s_mul_hi_u32 s9, s8, s9
	s_mul_i32 s10, s9, s7
	s_add_i32 s11, s9, 1
	s_sub_i32 s10, s8, s10
	s_sub_i32 s12, s10, s7
	s_cmp_ge_u32 s10, s7
	s_cselect_b32 s9, s11, s9
	s_cselect_b32 s10, s12, s10
	s_add_i32 s11, s9, 1
	s_cmp_ge_u32 s10, s7
	s_cselect_b32 s33, s11, s9
	s_abs_i32 s7, s31
	s_lshl_b32 s8, s8, 2
	v_cvt_f32_u32_e32 v2, s7
	s_sub_i32 s10, 0, s7
	s_mul_i32 s11, s33, s3
	s_abs_i32 s12, s3
	s_sub_i32 s29, s8, s11
	v_rcp_iflag_f32_e32 v2, v2
	v_mul_f32_e32 v2, 0x4f7ffffe, v2
	v_cvt_u32_f32_e32 v2, v2
	v_readfirstlane_b32 s9, v2
	s_mul_i32 s10, s10, s9
	s_mul_hi_u32 s10, s9, s10
	s_add_i32 s9, s9, s10
	s_mul_hi_u32 s8, s12, s9
	s_xor_b32 s9, s3, s31
	s_mul_i32 s10, s8, s7
	s_ashr_i32 s9, s9, 31
	s_sub_i32 s10, s12, s10
	s_add_i32 s11, s8, 1
	s_sub_i32 s12, s10, s7
	s_cmp_ge_u32 s10, s7
	s_cselect_b32 s8, s11, s8
	s_cselect_b32 s10, s12, s10
	s_add_i32 s11, s8, 1
	s_cmp_ge_u32 s10, s7
	s_cselect_b32 s7, s11, s8
	s_xor_b32 s7, s7, s9
	s_sub_i32 s31, s7, s9
	s_clause 0x1
	s_load_dwordx16 s[8:23], s[4:5], 0x0
	s_load_dwordx2 s[36:37], s[4:5], 0xb8
	s_abs_i32 s7, s31
	v_cvt_f32_u32_e32 v2, s7
	v_rcp_iflag_f32_e32 v2, v2
	v_mul_f32_e32 v2, 0x4f7ffffe, v2
	s_waitcnt lgkmcnt(0)
	s_cmp_eq_u64 s[14:15], 0
	v_cvt_u32_f32_e32 v2, v2
	v_readfirstlane_b32 s38, v2
	s_cbranch_scc1 .LBB26_2
; %bb.1:
	s_abs_i32 s26, s36
	s_abs_i32 s27, s33
	v_cvt_f32_u32_e32 v2, s26
	s_sub_i32 s25, 0, s26
	v_rcp_iflag_f32_e32 v2, v2
	v_mul_f32_e32 v2, 0x4f7ffffe, v2
	v_cvt_u32_f32_e32 v2, v2
	v_readfirstlane_b32 s24, v2
	s_mul_i32 s25, s25, s24
	s_mul_hi_u32 s25, s24, s25
	s_add_i32 s24, s24, s25
	s_mul_hi_u32 s34, s27, s24
	s_load_dwordx2 s[24:25], s[4:5], 0xc8
	s_mul_i32 s34, s34, s26
	s_sub_i32 s27, s27, s34
	s_ashr_i32 s34, s33, 31
	s_sub_i32 s35, s27, s26
	s_cmp_ge_u32 s27, s26
	s_cselect_b32 s27, s35, s27
	s_sub_i32 s35, s27, s26
	s_cmp_ge_u32 s27, s26
	s_cselect_b32 s26, s35, s27
	s_xor_b32 s26, s26, s34
	s_sub_i32 s26, s26, s34
	s_ashr_i32 s27, s26, 31
	s_waitcnt lgkmcnt(0)
	s_mul_hi_u32 s34, s24, s26
	s_mul_i32 s27, s24, s27
	s_mul_i32 s25, s25, s26
	s_add_i32 s27, s34, s27
	s_mul_i32 s24, s24, s26
	s_add_i32 s27, s27, s25
	s_add_u32 s34, s14, s24
	s_addc_u32 s35, s15, s27
.LBB26_2:
	v_lshrrev_b32_e32 v2, 1, v1
	s_load_dwordx4 s[24:27], s[4:5], 0x70
	v_lshlrev_b32_e32 v6, 1, v1
	v_lshlrev_b32_e32 v9, 4, v0
	v_mul_u32_u24_e32 v93, 0x900, v1
	v_lshl_add_u32 v81, s6, 2, v2
	v_and_b32_e32 v91, 2, v6
	v_mul_hi_u32 v2, s0, v81
	v_add_nc_u32_e32 v2, v81, v2
	s_waitcnt lgkmcnt(0)
	s_mul_i32 s14, s29, s25
	s_mov_b32 s0, s25
	v_lshrrev_b32_e32 v2, s1, v2
	s_mul_i32 s1, s33, s26
	s_ashr_i32 s15, s1, 31
	s_add_u32 s1, s8, s1
	v_mul_lo_u32 v2, v2, s2
	s_addc_u32 s8, s9, s15
	s_ashr_i32 s9, s14, 31
	s_add_u32 s14, s1, s14
	s_addc_u32 s15, s8, s9
	s_ashr_i32 s1, s25, 31
	s_ashr_i32 s25, s24, 31
	s_lshr_b64 s[8:9], s[24:25], 2
	v_sub_nc_u32_e32 v4, v81, v2
	s_lshr_b32 s24, s1, 2
	v_mul_lo_u32 v5, s24, v91
	v_mad_u64_u32 v[2:3], null, s8, v4, 0
	s_lshr_b32 s8, s25, 2
	v_mad_u64_u32 v[7:8], null, s8, v4, v[3:4]
	s_lshr_b64 s[8:9], s[0:1], 2
	s_load_dword s1, s[4:5], 0x40
	v_mov_b32_e32 v3, v7
	v_mad_u64_u32 v[7:8], null, s8, v91, 0
	v_lshlrev_b64 v[2:3], 2, v[2:3]
	v_or_b32_e32 v8, v8, v5
	v_add_co_u32 v5, vcc_lo, s14, v2
	v_add_co_ci_u32_e64 v10, null, s15, v3, vcc_lo
	v_lshlrev_b64 v[2:3], 2, v[7:8]
	v_add_co_u32 v7, vcc_lo, v5, v9
	v_add_co_ci_u32_e64 v8, null, 0, v10, vcc_lo
	v_lshlrev_b32_e32 v5, 3, v0
	v_add_co_u32 v2, vcc_lo, v7, v2
	v_add_co_ci_u32_e64 v3, null, v8, v3, vcc_lo
	v_mad_u32_u24 v25, 0x900, v1, v5
	v_cmp_gt_u32_e32 vcc_lo, 16, v0
	s_clause 0x3
	global_load_dwordx4 v[9:12], v[2:3], off
	global_load_dwordx4 v[13:16], v[2:3], off offset:512
	global_load_dwordx4 v[17:20], v[2:3], off offset:1024
	;; [unrolled: 1-line block ×3, first 2 shown]
	s_waitcnt vmcnt(3) lgkmcnt(0)
	v_fma_mixlo_f16 v9, s1, v9, 0
	v_fma_mixlo_f16 v10, s1, v10, 0
	v_fma_mixlo_f16 v11, s1, v11, 0
	v_fma_mixlo_f16 v12, s1, v12, 0
	s_waitcnt vmcnt(2)
	v_fma_mixlo_f16 v13, s1, v13, 0
	v_fma_mixlo_f16 v14, s1, v14, 0
	;; [unrolled: 1-line block ×4, first 2 shown]
	s_waitcnt vmcnt(1)
	v_fma_mixlo_f16 v17, s1, v17, 0
	v_fma_mixlo_f16 v18, s1, v18, 0
	s_waitcnt vmcnt(0)
	v_fma_mixlo_f16 v21, s1, v21, 0
	v_fma_mixlo_f16 v22, s1, v22, 0
	v_lshlrev_b32_e32 v10, 16, v10
	v_and_b32_e32 v9, 0xffff, v9
	v_lshlrev_b32_e32 v12, 16, v12
	v_and_b32_e32 v11, 0xffff, v11
	v_lshlrev_b32_e32 v14, 16, v14
	v_and_b32_e32 v13, 0xffff, v13
	v_fma_mixlo_f16 v19, s1, v19, 0
	v_fma_mixlo_f16 v20, s1, v20, 0
	v_fma_mixlo_f16 v23, s1, v23, 0
	v_fma_mixlo_f16 v24, s1, v24, 0
	v_lshlrev_b32_e32 v16, 16, v16
	v_and_b32_e32 v15, 0xffff, v15
	v_lshlrev_b32_e32 v18, 16, v18
	v_and_b32_e32 v17, 0xffff, v17
	;; [unrolled: 2-line block ×3, first 2 shown]
	v_or_b32_e32 v9, v10, v9
	v_or3_b32 v10, v12, v11, 0
	v_or_b32_e32 v11, v14, v13
	v_lshlrev_b32_e32 v20, 16, v20
	v_and_b32_e32 v19, 0xffff, v19
	v_lshlrev_b32_e32 v24, 16, v24
	v_and_b32_e32 v23, 0xffff, v23
	v_or3_b32 v12, v16, v15, 0
	v_or_b32_e32 v13, v18, v17
	v_or_b32_e32 v15, v22, v21
	v_or3_b32 v9, 0, 0, v9
	v_or3_b32 v11, 0, 0, v11
	;; [unrolled: 1-line block ×6, first 2 shown]
	ds_write2_b64 v25, v[9:10], v[11:12] offset1:32
	ds_write2_b64 v25, v[13:14], v[15:16] offset0:64 offset1:96
	s_and_saveexec_b32 s14, vcc_lo
	s_cbranch_execz .LBB26_4
; %bb.3:
	v_add_co_u32 v2, s0, 0x800, v2
	v_add_co_ci_u32_e64 v3, null, 0, v3, s0
	global_load_dwordx4 v[9:12], v[2:3], off
	s_waitcnt vmcnt(0)
	v_fma_mixlo_f16 v2, s1, v10, 0
	v_fma_mixlo_f16 v3, s1, v9, 0
	;; [unrolled: 1-line block ×4, first 2 shown]
	v_lshlrev_b32_e32 v2, 16, v2
	v_and_b32_e32 v3, 0xffff, v3
	v_and_b32_e32 v9, 0xffff, v9
	v_lshlrev_b32_e32 v10, 16, v10
	v_or_b32_e32 v2, v2, v3
	v_or3_b32 v3, v10, v9, 0
	v_add_nc_u32_e32 v9, v5, v93
	v_or3_b32 v2, 0, 0, v2
	ds_write_b64 v9, v[2:3] offset:1024
.LBB26_4:
	s_or_b32 exec_lo, exec_lo, s14
	v_or_b32_e32 v6, 1, v6
	v_and_b32_e32 v9, 3, v6
	v_mad_u32_u24 v23, 0x480, v6, v5
	v_mad_u64_u32 v[2:3], null, s8, v9, 0
	v_mad_u64_u32 v[9:10], null, s9, v9, v[3:4]
	v_mov_b32_e32 v3, v9
	v_lshlrev_b64 v[2:3], 2, v[2:3]
	v_add_co_u32 v2, s0, v7, v2
	v_add_co_ci_u32_e64 v3, null, v8, v3, s0
	s_clause 0x3
	global_load_dwordx4 v[7:10], v[2:3], off
	global_load_dwordx4 v[11:14], v[2:3], off offset:512
	global_load_dwordx4 v[15:18], v[2:3], off offset:1024
	;; [unrolled: 1-line block ×3, first 2 shown]
	s_waitcnt vmcnt(3)
	v_fma_mixlo_f16 v7, s1, v7, 0
	v_fma_mixlo_f16 v8, s1, v8, 0
	;; [unrolled: 1-line block ×4, first 2 shown]
	s_waitcnt vmcnt(2)
	v_fma_mixlo_f16 v11, s1, v11, 0
	v_fma_mixlo_f16 v12, s1, v12, 0
	;; [unrolled: 1-line block ×4, first 2 shown]
	s_waitcnt vmcnt(1)
	v_fma_mixlo_f16 v15, s1, v15, 0
	v_fma_mixlo_f16 v16, s1, v16, 0
	s_waitcnt vmcnt(0)
	v_fma_mixlo_f16 v19, s1, v19, 0
	v_fma_mixlo_f16 v20, s1, v20, 0
	v_lshlrev_b32_e32 v8, 16, v8
	v_and_b32_e32 v7, 0xffff, v7
	v_lshlrev_b32_e32 v10, 16, v10
	v_and_b32_e32 v9, 0xffff, v9
	;; [unrolled: 2-line block ×3, first 2 shown]
	v_fma_mixlo_f16 v17, s1, v17, 0
	v_fma_mixlo_f16 v18, s1, v18, 0
	;; [unrolled: 1-line block ×4, first 2 shown]
	v_lshlrev_b32_e32 v14, 16, v14
	v_and_b32_e32 v13, 0xffff, v13
	v_lshlrev_b32_e32 v16, 16, v16
	v_and_b32_e32 v15, 0xffff, v15
	;; [unrolled: 2-line block ×3, first 2 shown]
	v_or_b32_e32 v7, v8, v7
	v_or3_b32 v8, v10, v9, 0
	v_or_b32_e32 v9, v12, v11
	v_lshlrev_b32_e32 v18, 16, v18
	v_and_b32_e32 v17, 0xffff, v17
	v_lshlrev_b32_e32 v22, 16, v22
	v_and_b32_e32 v21, 0xffff, v21
	v_or3_b32 v10, v14, v13, 0
	v_or_b32_e32 v11, v16, v15
	v_or_b32_e32 v13, v20, v19
	v_or3_b32 v7, 0, 0, v7
	v_or3_b32 v9, 0, 0, v9
	;; [unrolled: 1-line block ×6, first 2 shown]
	ds_write2_b64 v23, v[7:8], v[9:10] offset1:32
	ds_write2_b64 v23, v[11:12], v[13:14] offset0:64 offset1:96
	s_and_saveexec_b32 s0, vcc_lo
	s_cbranch_execz .LBB26_6
; %bb.5:
	v_add_co_u32 v2, vcc_lo, 0x800, v2
	v_add_co_ci_u32_e64 v3, null, 0, v3, vcc_lo
	v_mul_u32_u24_e32 v6, 0x480, v6
	global_load_dwordx4 v[7:10], v[2:3], off
	v_add_nc_u32_e32 v6, v5, v6
	s_waitcnt vmcnt(0)
	v_fma_mixlo_f16 v2, s1, v8, 0
	v_fma_mixlo_f16 v3, s1, v7, 0
	;; [unrolled: 1-line block ×4, first 2 shown]
	v_lshlrev_b32_e32 v2, 16, v2
	v_and_b32_e32 v3, 0xffff, v3
	v_and_b32_e32 v7, 0xffff, v7
	v_lshlrev_b32_e32 v8, 16, v8
	v_or_b32_e32 v2, v2, v3
	v_or3_b32 v3, v8, v7, 0
	v_or3_b32 v2, 0, 0, v2
	ds_write_b64 v6, v[2:3] offset:1024
.LBB26_6:
	s_or_b32 exec_lo, exec_lo, s0
	s_cmp_eq_u64 s[18:19], 0
	s_waitcnt lgkmcnt(0)
	s_barrier
	buffer_gl0_inv
	s_cbranch_scc1 .LBB26_8
; %bb.7:
	s_load_dword s0, s[4:5], 0xd0
	s_mov_b32 s1, 0
	s_waitcnt lgkmcnt(0)
	s_mul_i32 s0, s0, s33
	s_add_i32 s0, s0, s6
	s_lshl_b64 s[0:1], s[0:1], 2
	s_add_u32 s0, s18, s0
	s_addc_u32 s1, s19, s1
	s_load_dword s30, s[0:1], 0x0
.LBB26_8:
	v_lshlrev_b32_e32 v92, 2, v0
	v_mbcnt_lo_u32_b32 v94, -1, 0
	s_lshl_b32 s8, s28, 6
	s_waitcnt lgkmcnt(0)
	s_cmp_lt_i32 s8, s30
	s_cbranch_scc1 .LBB26_11
; %bb.9:
	v_mbcnt_lo_u32_b32 v2, -1, 0
	v_mov_b32_e32 v95, 32
	v_xor_b32_e32 v129, 16, v2
	v_xor_b32_e32 v125, 8, v2
	v_xor_b32_e32 v126, 4, v2
	v_xor_b32_e32 v127, 2, v2
	v_xor_b32_e32 v128, 1, v2
	s_cbranch_execz .LBB26_12
; %bb.10:
	v_mov_b32_e32 v119, 0
	v_mov_b32_e32 v78, 0
	;; [unrolled: 1-line block ×20, first 2 shown]
	s_branch .LBB26_32
.LBB26_11:
                                        ; implicit-def: $vgpr2
                                        ; implicit-def: $vgpr95
                                        ; implicit-def: $vgpr129
                                        ; implicit-def: $vgpr125
                                        ; implicit-def: $vgpr126
                                        ; implicit-def: $vgpr127
                                        ; implicit-def: $vgpr128
.LBB26_12:
	s_clause 0x1
	s_load_dwordx4 s[24:27], s[4:5], 0x98
	s_load_dwordx2 s[0:1], s[4:5], 0x8c
	s_sub_i32 s6, 0, s7
	s_abs_i32 s15, s29
	s_mul_i32 s6, s6, s38
	s_ashr_i32 s36, s29, 31
	s_mul_hi_u32 s6, s38, s6
	s_ashr_i32 s31, s31, 31
	s_add_i32 s38, s38, s6
	s_ashr_i32 s37, s37, 1
	s_mul_hi_u32 s6, s15, s38
	s_ashr_i32 s38, s33, 31
	s_load_dwordx2 s[18:19], s[4:5], 0xa8
	s_mul_i32 s39, s6, s7
	v_lshrrev_b32_e32 v2, 3, v0
	v_and_b32_e32 v10, 28, v92
	v_lshlrev_b32_e32 v11, 2, v92
	v_mad_u64_u32 v[82:83], null, v4, s37, v[0:1]
	v_lshl_add_u32 v3, v1, 2, v2
	s_waitcnt lgkmcnt(0)
	s_ashr_i32 s9, s26, 2
	s_ashr_i32 s14, s0, 2
	s_mul_hi_u32 s0, s24, s33
	s_mul_i32 s26, s24, s38
	s_mul_i32 s25, s25, s33
	s_add_i32 s0, s0, s26
	s_mul_i32 s24, s24, s33
	s_add_i32 s0, s0, s25
	s_add_u32 s24, s10, s24
	s_addc_u32 s0, s11, s0
	s_sub_i32 s15, s15, s39
	s_xor_b32 s11, s36, s31
	s_add_i32 s25, s6, 1
	s_sub_i32 s26, s15, s7
	s_cmp_ge_u32 s15, s7
	v_lshlrev_b32_e32 v6, 2, v10
	s_cselect_b32 s6, s25, s6
	s_cselect_b32 s15, s26, s15
	s_add_i32 s25, s6, 1
	s_cmp_ge_u32 s15, s7
	v_mad_u32_u24 v9, 0x90, v3, v6
	v_mul_lo_u32 v6, s9, v1
	s_cselect_b32 s6, s25, s6
	v_mul_lo_u32 v2, s14, v3
	s_xor_b32 s6, s6, s11
	s_load_dword s10, s[4:5], 0x54
	s_sub_i32 s6, s6, s11
	s_mul_hi_u32 s7, s18, s33
	s_mul_i32 s1, s6, s1
	v_ashrrev_i32_e32 v7, 31, v6
	s_mul_i32 s25, s18, s38
	s_ashr_i32 s15, s1, 31
	s_add_u32 s11, s24, s1
	s_mul_i32 s19, s19, s33
	s_addc_u32 s15, s0, s15
	s_add_i32 s0, s7, s25
	s_mul_i32 s1, s18, s33
	v_lshlrev_b64 v[6:7], 2, v[6:7]
	s_add_i32 s0, s0, s19
	s_mul_i32 s6, s6, s27
	s_add_u32 s1, s12, s1
	v_lshl_add_u32 v8, s14, 5, v2
	s_addc_u32 s0, s13, s0
	s_ashr_i32 s7, s6, 31
	s_add_u32 s1, s1, s6
	s_addc_u32 s0, s0, s7
	v_lshl_add_u32 v12, v1, 10, v11
	v_lshl_add_u32 v99, v1, 8, 0x6c00
	v_add_co_u32 v1, vcc_lo, s1, v6
	v_add_nc_u32_e32 v96, 0x4800, v9
	v_ashrrev_i32_e32 v3, 31, v2
	v_add_nc_u32_e32 v97, 0x5a00, v9
	v_ashrrev_i32_e32 v9, 31, v8
	v_add_co_ci_u32_e64 v4, null, s0, v7, vcc_lo
	s_movk_i32 s6, 0x4800
	v_add_co_u32 v103, vcc_lo, v1, v11
	v_lshlrev_b64 v[83:84], 2, v[2:3]
	v_lshlrev_b64 v[85:86], 2, v[8:9]
	v_mov_b32_e32 v109, 0
	v_mad_u32_u24 v98, 0x90, v0, s6
	v_add_nc_u32_e32 v100, 0x4800, v12
	v_add_nc_u32_e32 v101, 0x4a00, v12
	v_or_b32_e32 v102, 0x4800, v5
	v_add_co_ci_u32_e64 v104, null, 0, v4, vcc_lo
	v_mov_b32_e32 v89, 0xfeffffff
	v_lshlrev_b32_e32 v105, 2, v10
	v_mov_b32_e32 v95, 32
	v_mov_b32_e32 v106, 0x10001
	;; [unrolled: 1-line block ×20, first 2 shown]
	s_add_u32 s0, s4, 0xd0
	s_addc_u32 s1, s5, 0
	s_mov_b32 s12, 0xbbbac73d
.LBB26_13:                              ; =>This Inner Loop Header: Depth=1
	s_mul_hi_i32 s7, s8, s14
	s_mul_i32 s6, s8, s14
	s_lshl_b64 s[6:7], s[6:7], 2
	s_add_u32 s6, s11, s6
	s_addc_u32 s7, s15, s7
	v_add_co_u32 v1, vcc_lo, s6, v83
	v_add_co_ci_u32_e64 v2, null, s7, v84, vcc_lo
	v_add_co_u32 v3, vcc_lo, s6, v85
	v_add_co_ci_u32_e64 v4, null, s7, v86, vcc_lo
	;; [unrolled: 2-line block ×4, first 2 shown]
	s_clause 0x1
	global_load_dwordx4 v[5:8], v[1:2], off
	global_load_dwordx4 v[9:12], v[3:4], off
	s_waitcnt vmcnt(1)
	ds_write_b128 v96, v[5:8]
	s_waitcnt vmcnt(0)
	ds_write_b128 v97, v[9:12]
	s_waitcnt lgkmcnt(0)
	s_barrier
	buffer_gl0_inv
	ds_read_b128 v[9:12], v98
	ds_read_b128 v[13:16], v93
	ds_read_b128 v[17:20], v93 offset:1152
	ds_read_b128 v[21:24], v98 offset:4608
	v_mov_b32_e32 v7, 0
	v_mov_b32_e32 v5, 0
	;; [unrolled: 1-line block ×4, first 2 shown]
	s_waitcnt lgkmcnt(2)
	;;#ASMSTART
	v_dot2_f32_f16 v7, v9, v13, v7
	;;#ASMEND
	;;#ASMSTART
	v_dot2_f32_f16 v7, v10, v14, v7
	;;#ASMEND
	;;#ASMSTART
	v_dot2_f32_f16 v7, v11, v15, v7
	;;#ASMEND
	;;#ASMSTART
	v_dot2_f32_f16 v7, v12, v16, v7
	;;#ASMEND
	s_waitcnt lgkmcnt(1)
	;;#ASMSTART
	v_dot2_f32_f16 v5, v9, v17, v5
	;;#ASMEND
	;;#ASMSTART
	v_dot2_f32_f16 v5, v10, v18, v5
	;;#ASMEND
	;;#ASMSTART
	v_dot2_f32_f16 v5, v11, v19, v5
	;;#ASMEND
	;;#ASMSTART
	v_dot2_f32_f16 v5, v12, v20, v5
	;;#ASMEND
	s_waitcnt lgkmcnt(0)
	;;#ASMSTART
	v_dot2_f32_f16 v8, v21, v13, v8
	;;#ASMEND
	;;#ASMSTART
	v_dot2_f32_f16 v8, v22, v14, v8
	;;#ASMEND
	;;#ASMSTART
	v_dot2_f32_f16 v8, v23, v15, v8
	;;#ASMEND
	;;#ASMSTART
	v_dot2_f32_f16 v8, v24, v16, v8
	;;#ASMEND
	;;#ASMSTART
	v_dot2_f32_f16 v6, v21, v17, v6
	;;#ASMEND
	;;#ASMSTART
	v_dot2_f32_f16 v6, v22, v18, v6
	;;#ASMEND
	;;#ASMSTART
	v_dot2_f32_f16 v6, v23, v19, v6
	;;#ASMEND
	;;#ASMSTART
	v_dot2_f32_f16 v6, v24, v20, v6
	;;#ASMEND
	ds_read_b128 v[9:12], v98 offset:16
	ds_read_b128 v[13:16], v93 offset:16
	ds_read_b128 v[17:20], v93 offset:1168
	ds_read_b128 v[21:24], v98 offset:4624
	s_waitcnt lgkmcnt(2)
	;;#ASMSTART
	v_dot2_f32_f16 v7, v9, v13, v7
	;;#ASMEND
	;;#ASMSTART
	v_dot2_f32_f16 v7, v10, v14, v7
	;;#ASMEND
	;;#ASMSTART
	v_dot2_f32_f16 v7, v11, v15, v7
	;;#ASMEND
	;;#ASMSTART
	v_dot2_f32_f16 v7, v12, v16, v7
	;;#ASMEND
	s_waitcnt lgkmcnt(1)
	;;#ASMSTART
	v_dot2_f32_f16 v5, v9, v17, v5
	;;#ASMEND
	;;#ASMSTART
	v_dot2_f32_f16 v5, v10, v18, v5
	;;#ASMEND
	;;#ASMSTART
	v_dot2_f32_f16 v5, v11, v19, v5
	;;#ASMEND
	;;#ASMSTART
	v_dot2_f32_f16 v5, v12, v20, v5
	;;#ASMEND
	s_waitcnt lgkmcnt(0)
	;;#ASMSTART
	v_dot2_f32_f16 v8, v21, v13, v8
	;;#ASMEND
	;;#ASMSTART
	v_dot2_f32_f16 v8, v22, v14, v8
	;;#ASMEND
	;;#ASMSTART
	v_dot2_f32_f16 v8, v23, v15, v8
	;;#ASMEND
	;;#ASMSTART
	v_dot2_f32_f16 v8, v24, v16, v8
	;;#ASMEND
	;;#ASMSTART
	v_dot2_f32_f16 v6, v21, v17, v6
	;;#ASMEND
	;;#ASMSTART
	v_dot2_f32_f16 v6, v22, v18, v6
	;;#ASMEND
	;;#ASMSTART
	v_dot2_f32_f16 v6, v23, v19, v6
	;;#ASMEND
	;;#ASMSTART
	v_dot2_f32_f16 v6, v24, v20, v6
	;;#ASMEND
	ds_read_b128 v[9:12], v98 offset:32
	ds_read_b128 v[13:16], v93 offset:32
	ds_read_b128 v[17:20], v93 offset:1184
	ds_read_b128 v[21:24], v98 offset:4640
	;; [unrolled: 55-line block ×7, first 2 shown]
	s_waitcnt lgkmcnt(2)
	;;#ASMSTART
	v_dot2_f32_f16 v7, v9, v13, v7
	;;#ASMEND
	;;#ASMSTART
	v_dot2_f32_f16 v7, v10, v14, v7
	;;#ASMEND
	;;#ASMSTART
	v_dot2_f32_f16 v7, v11, v15, v7
	;;#ASMEND
	;;#ASMSTART
	v_dot2_f32_f16 v7, v12, v16, v7
	;;#ASMEND
	s_waitcnt lgkmcnt(1)
	;;#ASMSTART
	v_dot2_f32_f16 v5, v9, v17, v5
	;;#ASMEND
	;;#ASMSTART
	v_dot2_f32_f16 v5, v10, v18, v5
	;;#ASMEND
	;;#ASMSTART
	v_dot2_f32_f16 v5, v11, v19, v5
	;;#ASMEND
	;;#ASMSTART
	v_dot2_f32_f16 v5, v12, v20, v5
	;;#ASMEND
	;; [unrolled: 13-line block ×3, first 2 shown]
	;;#ASMSTART
	v_dot2_f32_f16 v6, v21, v17, v6
	;;#ASMEND
	;;#ASMSTART
	v_dot2_f32_f16 v6, v22, v18, v6
	;;#ASMEND
	;; [unrolled: 3-line block ×4, first 2 shown]
	s_barrier
	buffer_gl0_inv
	s_clause 0x1
	global_load_dwordx4 v[9:12], v[1:2], off offset:128
	global_load_dwordx4 v[13:16], v[3:4], off offset:128
	s_waitcnt vmcnt(1)
	ds_write_b128 v96, v[9:12]
	s_waitcnt vmcnt(0)
	ds_write_b128 v97, v[13:16]
	s_waitcnt lgkmcnt(0)
	s_barrier
	buffer_gl0_inv
	ds_read_b128 v[9:12], v98
	ds_read_b128 v[13:16], v93 offset:128
	ds_read_b128 v[17:20], v93 offset:1280
	ds_read_b128 v[21:24], v98 offset:4608
	s_waitcnt lgkmcnt(2)
	;;#ASMSTART
	v_dot2_f32_f16 v7, v9, v13, v7
	;;#ASMEND
	;;#ASMSTART
	v_dot2_f32_f16 v7, v10, v14, v7
	;;#ASMEND
	;;#ASMSTART
	v_dot2_f32_f16 v7, v11, v15, v7
	;;#ASMEND
	;;#ASMSTART
	v_dot2_f32_f16 v7, v12, v16, v7
	;;#ASMEND
	s_waitcnt lgkmcnt(1)
	;;#ASMSTART
	v_dot2_f32_f16 v5, v9, v17, v5
	;;#ASMEND
	;;#ASMSTART
	v_dot2_f32_f16 v5, v10, v18, v5
	;;#ASMEND
	;;#ASMSTART
	v_dot2_f32_f16 v5, v11, v19, v5
	;;#ASMEND
	;;#ASMSTART
	v_dot2_f32_f16 v5, v12, v20, v5
	;;#ASMEND
	s_waitcnt lgkmcnt(0)
	;;#ASMSTART
	v_dot2_f32_f16 v8, v21, v13, v8
	;;#ASMEND
	;;#ASMSTART
	v_dot2_f32_f16 v8, v22, v14, v8
	;;#ASMEND
	;;#ASMSTART
	v_dot2_f32_f16 v8, v23, v15, v8
	;;#ASMEND
	;;#ASMSTART
	v_dot2_f32_f16 v8, v24, v16, v8
	;;#ASMEND
	;;#ASMSTART
	v_dot2_f32_f16 v6, v21, v17, v6
	;;#ASMEND
	;;#ASMSTART
	v_dot2_f32_f16 v6, v22, v18, v6
	;;#ASMEND
	;;#ASMSTART
	v_dot2_f32_f16 v6, v23, v19, v6
	;;#ASMEND
	;;#ASMSTART
	v_dot2_f32_f16 v6, v24, v20, v6
	;;#ASMEND
	ds_read_b128 v[9:12], v98 offset:16
	ds_read_b128 v[13:16], v93 offset:144
	ds_read_b128 v[17:20], v93 offset:1296
	ds_read_b128 v[21:24], v98 offset:4624
	s_waitcnt lgkmcnt(2)
	;;#ASMSTART
	v_dot2_f32_f16 v7, v9, v13, v7
	;;#ASMEND
	;;#ASMSTART
	v_dot2_f32_f16 v7, v10, v14, v7
	;;#ASMEND
	;;#ASMSTART
	v_dot2_f32_f16 v7, v11, v15, v7
	;;#ASMEND
	;;#ASMSTART
	v_dot2_f32_f16 v7, v12, v16, v7
	;;#ASMEND
	s_waitcnt lgkmcnt(1)
	;;#ASMSTART
	v_dot2_f32_f16 v5, v9, v17, v5
	;;#ASMEND
	;;#ASMSTART
	v_dot2_f32_f16 v5, v10, v18, v5
	;;#ASMEND
	;;#ASMSTART
	v_dot2_f32_f16 v5, v11, v19, v5
	;;#ASMEND
	;;#ASMSTART
	v_dot2_f32_f16 v5, v12, v20, v5
	;;#ASMEND
	s_waitcnt lgkmcnt(0)
	;;#ASMSTART
	v_dot2_f32_f16 v8, v21, v13, v8
	;;#ASMEND
	;;#ASMSTART
	v_dot2_f32_f16 v8, v22, v14, v8
	;;#ASMEND
	;;#ASMSTART
	v_dot2_f32_f16 v8, v23, v15, v8
	;;#ASMEND
	;;#ASMSTART
	v_dot2_f32_f16 v8, v24, v16, v8
	;;#ASMEND
	;;#ASMSTART
	v_dot2_f32_f16 v6, v21, v17, v6
	;;#ASMEND
	;;#ASMSTART
	v_dot2_f32_f16 v6, v22, v18, v6
	;;#ASMEND
	;;#ASMSTART
	v_dot2_f32_f16 v6, v23, v19, v6
	;;#ASMEND
	;;#ASMSTART
	v_dot2_f32_f16 v6, v24, v20, v6
	;;#ASMEND
	ds_read_b128 v[9:12], v98 offset:32
	;; [unrolled: 55-line block ×7, first 2 shown]
	ds_read_b128 v[13:16], v93 offset:240
	ds_read_b128 v[17:20], v93 offset:1392
	;; [unrolled: 1-line block ×3, first 2 shown]
	s_waitcnt lgkmcnt(2)
	;;#ASMSTART
	v_dot2_f32_f16 v7, v9, v13, v7
	;;#ASMEND
	;;#ASMSTART
	v_dot2_f32_f16 v7, v10, v14, v7
	;;#ASMEND
	;;#ASMSTART
	v_dot2_f32_f16 v7, v11, v15, v7
	;;#ASMEND
	;;#ASMSTART
	v_dot2_f32_f16 v7, v12, v16, v7
	;;#ASMEND
	s_waitcnt lgkmcnt(1)
	;;#ASMSTART
	v_dot2_f32_f16 v5, v9, v17, v5
	;;#ASMEND
	;;#ASMSTART
	v_dot2_f32_f16 v5, v10, v18, v5
	;;#ASMEND
	;;#ASMSTART
	v_dot2_f32_f16 v5, v11, v19, v5
	;;#ASMEND
	;;#ASMSTART
	v_dot2_f32_f16 v5, v12, v20, v5
	;;#ASMEND
	;; [unrolled: 13-line block ×3, first 2 shown]
	;;#ASMSTART
	v_dot2_f32_f16 v6, v21, v17, v6
	;;#ASMEND
	;;#ASMSTART
	v_dot2_f32_f16 v6, v22, v18, v6
	;;#ASMEND
	;; [unrolled: 3-line block ×4, first 2 shown]
	s_barrier
	buffer_gl0_inv
	s_clause 0x1
	global_load_dwordx4 v[9:12], v[1:2], off offset:256
	global_load_dwordx4 v[13:16], v[3:4], off offset:256
	s_waitcnt vmcnt(1)
	ds_write_b128 v96, v[9:12]
	s_waitcnt vmcnt(0)
	ds_write_b128 v97, v[13:16]
	s_waitcnt lgkmcnt(0)
	s_barrier
	buffer_gl0_inv
	ds_read_b128 v[9:12], v98
	ds_read_b128 v[13:16], v93 offset:256
	ds_read_b128 v[17:20], v93 offset:1408
	ds_read_b128 v[21:24], v98 offset:4608
	s_waitcnt lgkmcnt(2)
	;;#ASMSTART
	v_dot2_f32_f16 v7, v9, v13, v7
	;;#ASMEND
	;;#ASMSTART
	v_dot2_f32_f16 v7, v10, v14, v7
	;;#ASMEND
	;;#ASMSTART
	v_dot2_f32_f16 v7, v11, v15, v7
	;;#ASMEND
	;;#ASMSTART
	v_dot2_f32_f16 v7, v12, v16, v7
	;;#ASMEND
	s_waitcnt lgkmcnt(1)
	;;#ASMSTART
	v_dot2_f32_f16 v5, v9, v17, v5
	;;#ASMEND
	;;#ASMSTART
	v_dot2_f32_f16 v5, v10, v18, v5
	;;#ASMEND
	;;#ASMSTART
	v_dot2_f32_f16 v5, v11, v19, v5
	;;#ASMEND
	;;#ASMSTART
	v_dot2_f32_f16 v5, v12, v20, v5
	;;#ASMEND
	s_waitcnt lgkmcnt(0)
	;;#ASMSTART
	v_dot2_f32_f16 v8, v21, v13, v8
	;;#ASMEND
	;;#ASMSTART
	v_dot2_f32_f16 v8, v22, v14, v8
	;;#ASMEND
	;;#ASMSTART
	v_dot2_f32_f16 v8, v23, v15, v8
	;;#ASMEND
	;;#ASMSTART
	v_dot2_f32_f16 v8, v24, v16, v8
	;;#ASMEND
	;;#ASMSTART
	v_dot2_f32_f16 v6, v21, v17, v6
	;;#ASMEND
	;;#ASMSTART
	v_dot2_f32_f16 v6, v22, v18, v6
	;;#ASMEND
	;;#ASMSTART
	v_dot2_f32_f16 v6, v23, v19, v6
	;;#ASMEND
	;;#ASMSTART
	v_dot2_f32_f16 v6, v24, v20, v6
	;;#ASMEND
	ds_read_b128 v[9:12], v98 offset:16
	ds_read_b128 v[13:16], v93 offset:272
	ds_read_b128 v[17:20], v93 offset:1424
	ds_read_b128 v[21:24], v98 offset:4624
	s_waitcnt lgkmcnt(2)
	;;#ASMSTART
	v_dot2_f32_f16 v7, v9, v13, v7
	;;#ASMEND
	;;#ASMSTART
	v_dot2_f32_f16 v7, v10, v14, v7
	;;#ASMEND
	;;#ASMSTART
	v_dot2_f32_f16 v7, v11, v15, v7
	;;#ASMEND
	;;#ASMSTART
	v_dot2_f32_f16 v7, v12, v16, v7
	;;#ASMEND
	s_waitcnt lgkmcnt(1)
	;;#ASMSTART
	v_dot2_f32_f16 v5, v9, v17, v5
	;;#ASMEND
	;;#ASMSTART
	v_dot2_f32_f16 v5, v10, v18, v5
	;;#ASMEND
	;;#ASMSTART
	v_dot2_f32_f16 v5, v11, v19, v5
	;;#ASMEND
	;;#ASMSTART
	v_dot2_f32_f16 v5, v12, v20, v5
	;;#ASMEND
	s_waitcnt lgkmcnt(0)
	;;#ASMSTART
	v_dot2_f32_f16 v8, v21, v13, v8
	;;#ASMEND
	;;#ASMSTART
	v_dot2_f32_f16 v8, v22, v14, v8
	;;#ASMEND
	;;#ASMSTART
	v_dot2_f32_f16 v8, v23, v15, v8
	;;#ASMEND
	;;#ASMSTART
	v_dot2_f32_f16 v8, v24, v16, v8
	;;#ASMEND
	;;#ASMSTART
	v_dot2_f32_f16 v6, v21, v17, v6
	;;#ASMEND
	;;#ASMSTART
	v_dot2_f32_f16 v6, v22, v18, v6
	;;#ASMEND
	;;#ASMSTART
	v_dot2_f32_f16 v6, v23, v19, v6
	;;#ASMEND
	;;#ASMSTART
	v_dot2_f32_f16 v6, v24, v20, v6
	;;#ASMEND
	ds_read_b128 v[9:12], v98 offset:32
	ds_read_b128 v[13:16], v93 offset:288
	ds_read_b128 v[17:20], v93 offset:1440
	ds_read_b128 v[21:24], v98 offset:4640
	s_waitcnt lgkmcnt(2)
	;;#ASMSTART
	v_dot2_f32_f16 v7, v9, v13, v7
	;;#ASMEND
	;;#ASMSTART
	v_dot2_f32_f16 v7, v10, v14, v7
	;;#ASMEND
	;;#ASMSTART
	v_dot2_f32_f16 v7, v11, v15, v7
	;;#ASMEND
	;;#ASMSTART
	v_dot2_f32_f16 v7, v12, v16, v7
	;;#ASMEND
	s_waitcnt lgkmcnt(1)
	;;#ASMSTART
	v_dot2_f32_f16 v5, v9, v17, v5
	;;#ASMEND
	;;#ASMSTART
	v_dot2_f32_f16 v5, v10, v18, v5
	;;#ASMEND
	;;#ASMSTART
	v_dot2_f32_f16 v5, v11, v19, v5
	;;#ASMEND
	;;#ASMSTART
	v_dot2_f32_f16 v5, v12, v20, v5
	;;#ASMEND
	s_waitcnt lgkmcnt(0)
	;;#ASMSTART
	v_dot2_f32_f16 v8, v21, v13, v8
	;;#ASMEND
	;;#ASMSTART
	v_dot2_f32_f16 v8, v22, v14, v8
	;;#ASMEND
	;;#ASMSTART
	v_dot2_f32_f16 v8, v23, v15, v8
	;;#ASMEND
	;;#ASMSTART
	v_dot2_f32_f16 v8, v24, v16, v8
	;;#ASMEND
	;;#ASMSTART
	v_dot2_f32_f16 v6, v21, v17, v6
	;;#ASMEND
	;;#ASMSTART
	v_dot2_f32_f16 v6, v22, v18, v6
	;;#ASMEND
	;;#ASMSTART
	v_dot2_f32_f16 v6, v23, v19, v6
	;;#ASMEND
	;;#ASMSTART
	v_dot2_f32_f16 v6, v24, v20, v6
	;;#ASMEND
	ds_read_b128 v[9:12], v98 offset:48
	ds_read_b128 v[13:16], v93 offset:304
	ds_read_b128 v[17:20], v93 offset:1456
	ds_read_b128 v[21:24], v98 offset:4656
	s_waitcnt lgkmcnt(2)
	;;#ASMSTART
	v_dot2_f32_f16 v7, v9, v13, v7
	;;#ASMEND
	;;#ASMSTART
	v_dot2_f32_f16 v7, v10, v14, v7
	;;#ASMEND
	;;#ASMSTART
	v_dot2_f32_f16 v7, v11, v15, v7
	;;#ASMEND
	;;#ASMSTART
	v_dot2_f32_f16 v7, v12, v16, v7
	;;#ASMEND
	s_waitcnt lgkmcnt(1)
	;;#ASMSTART
	v_dot2_f32_f16 v5, v9, v17, v5
	;;#ASMEND
	;;#ASMSTART
	v_dot2_f32_f16 v5, v10, v18, v5
	;;#ASMEND
	;;#ASMSTART
	v_dot2_f32_f16 v5, v11, v19, v5
	;;#ASMEND
	;;#ASMSTART
	v_dot2_f32_f16 v5, v12, v20, v5
	;;#ASMEND
	s_waitcnt lgkmcnt(0)
	;;#ASMSTART
	v_dot2_f32_f16 v8, v21, v13, v8
	;;#ASMEND
	;;#ASMSTART
	v_dot2_f32_f16 v8, v22, v14, v8
	;;#ASMEND
	;;#ASMSTART
	v_dot2_f32_f16 v8, v23, v15, v8
	;;#ASMEND
	;;#ASMSTART
	v_dot2_f32_f16 v8, v24, v16, v8
	;;#ASMEND
	;;#ASMSTART
	v_dot2_f32_f16 v6, v21, v17, v6
	;;#ASMEND
	;;#ASMSTART
	v_dot2_f32_f16 v6, v22, v18, v6
	;;#ASMEND
	;;#ASMSTART
	v_dot2_f32_f16 v6, v23, v19, v6
	;;#ASMEND
	;;#ASMSTART
	v_dot2_f32_f16 v6, v24, v20, v6
	;;#ASMEND
	ds_read_b128 v[9:12], v98 offset:64
	ds_read_b128 v[13:16], v93 offset:320
	ds_read_b128 v[17:20], v93 offset:1472
	ds_read_b128 v[21:24], v98 offset:4672
	s_waitcnt lgkmcnt(2)
	;;#ASMSTART
	v_dot2_f32_f16 v7, v9, v13, v7
	;;#ASMEND
	;;#ASMSTART
	v_dot2_f32_f16 v7, v10, v14, v7
	;;#ASMEND
	;;#ASMSTART
	v_dot2_f32_f16 v7, v11, v15, v7
	;;#ASMEND
	;;#ASMSTART
	v_dot2_f32_f16 v7, v12, v16, v7
	;;#ASMEND
	s_waitcnt lgkmcnt(1)
	;;#ASMSTART
	v_dot2_f32_f16 v5, v9, v17, v5
	;;#ASMEND
	;;#ASMSTART
	v_dot2_f32_f16 v5, v10, v18, v5
	;;#ASMEND
	;;#ASMSTART
	v_dot2_f32_f16 v5, v11, v19, v5
	;;#ASMEND
	;;#ASMSTART
	v_dot2_f32_f16 v5, v12, v20, v5
	;;#ASMEND
	s_waitcnt lgkmcnt(0)
	;;#ASMSTART
	v_dot2_f32_f16 v8, v21, v13, v8
	;;#ASMEND
	;;#ASMSTART
	v_dot2_f32_f16 v8, v22, v14, v8
	;;#ASMEND
	;;#ASMSTART
	v_dot2_f32_f16 v8, v23, v15, v8
	;;#ASMEND
	;;#ASMSTART
	v_dot2_f32_f16 v8, v24, v16, v8
	;;#ASMEND
	;;#ASMSTART
	v_dot2_f32_f16 v6, v21, v17, v6
	;;#ASMEND
	;;#ASMSTART
	v_dot2_f32_f16 v6, v22, v18, v6
	;;#ASMEND
	;;#ASMSTART
	v_dot2_f32_f16 v6, v23, v19, v6
	;;#ASMEND
	;;#ASMSTART
	v_dot2_f32_f16 v6, v24, v20, v6
	;;#ASMEND
	ds_read_b128 v[9:12], v98 offset:80
	ds_read_b128 v[13:16], v93 offset:336
	ds_read_b128 v[17:20], v93 offset:1488
	ds_read_b128 v[21:24], v98 offset:4688
	s_waitcnt lgkmcnt(2)
	;;#ASMSTART
	v_dot2_f32_f16 v7, v9, v13, v7
	;;#ASMEND
	;;#ASMSTART
	v_dot2_f32_f16 v7, v10, v14, v7
	;;#ASMEND
	;;#ASMSTART
	v_dot2_f32_f16 v7, v11, v15, v7
	;;#ASMEND
	;;#ASMSTART
	v_dot2_f32_f16 v7, v12, v16, v7
	;;#ASMEND
	s_waitcnt lgkmcnt(1)
	;;#ASMSTART
	v_dot2_f32_f16 v5, v9, v17, v5
	;;#ASMEND
	;;#ASMSTART
	v_dot2_f32_f16 v5, v10, v18, v5
	;;#ASMEND
	;;#ASMSTART
	v_dot2_f32_f16 v5, v11, v19, v5
	;;#ASMEND
	;;#ASMSTART
	v_dot2_f32_f16 v5, v12, v20, v5
	;;#ASMEND
	s_waitcnt lgkmcnt(0)
	;;#ASMSTART
	v_dot2_f32_f16 v8, v21, v13, v8
	;;#ASMEND
	;;#ASMSTART
	v_dot2_f32_f16 v8, v22, v14, v8
	;;#ASMEND
	;;#ASMSTART
	v_dot2_f32_f16 v8, v23, v15, v8
	;;#ASMEND
	;;#ASMSTART
	v_dot2_f32_f16 v8, v24, v16, v8
	;;#ASMEND
	;;#ASMSTART
	v_dot2_f32_f16 v6, v21, v17, v6
	;;#ASMEND
	;;#ASMSTART
	v_dot2_f32_f16 v6, v22, v18, v6
	;;#ASMEND
	;;#ASMSTART
	v_dot2_f32_f16 v6, v23, v19, v6
	;;#ASMEND
	;;#ASMSTART
	v_dot2_f32_f16 v6, v24, v20, v6
	;;#ASMEND
	ds_read_b128 v[9:12], v98 offset:96
	ds_read_b128 v[13:16], v93 offset:352
	ds_read_b128 v[17:20], v93 offset:1504
	ds_read_b128 v[21:24], v98 offset:4704
	s_waitcnt lgkmcnt(2)
	;;#ASMSTART
	v_dot2_f32_f16 v7, v9, v13, v7
	;;#ASMEND
	;;#ASMSTART
	v_dot2_f32_f16 v7, v10, v14, v7
	;;#ASMEND
	;;#ASMSTART
	v_dot2_f32_f16 v7, v11, v15, v7
	;;#ASMEND
	;;#ASMSTART
	v_dot2_f32_f16 v7, v12, v16, v7
	;;#ASMEND
	s_waitcnt lgkmcnt(1)
	;;#ASMSTART
	v_dot2_f32_f16 v5, v9, v17, v5
	;;#ASMEND
	;;#ASMSTART
	v_dot2_f32_f16 v5, v10, v18, v5
	;;#ASMEND
	;;#ASMSTART
	v_dot2_f32_f16 v5, v11, v19, v5
	;;#ASMEND
	;;#ASMSTART
	v_dot2_f32_f16 v5, v12, v20, v5
	;;#ASMEND
	s_waitcnt lgkmcnt(0)
	;;#ASMSTART
	v_dot2_f32_f16 v8, v21, v13, v8
	;;#ASMEND
	;;#ASMSTART
	v_dot2_f32_f16 v8, v22, v14, v8
	;;#ASMEND
	;;#ASMSTART
	v_dot2_f32_f16 v8, v23, v15, v8
	;;#ASMEND
	;;#ASMSTART
	v_dot2_f32_f16 v8, v24, v16, v8
	;;#ASMEND
	;;#ASMSTART
	v_dot2_f32_f16 v6, v21, v17, v6
	;;#ASMEND
	;;#ASMSTART
	v_dot2_f32_f16 v6, v22, v18, v6
	;;#ASMEND
	;;#ASMSTART
	v_dot2_f32_f16 v6, v23, v19, v6
	;;#ASMEND
	;;#ASMSTART
	v_dot2_f32_f16 v6, v24, v20, v6
	;;#ASMEND
	ds_read_b128 v[9:12], v98 offset:112
	ds_read_b128 v[13:16], v93 offset:368
	ds_read_b128 v[17:20], v93 offset:1520
	;; [unrolled: 1-line block ×3, first 2 shown]
	s_waitcnt lgkmcnt(2)
	;;#ASMSTART
	v_dot2_f32_f16 v7, v9, v13, v7
	;;#ASMEND
	;;#ASMSTART
	v_dot2_f32_f16 v7, v10, v14, v7
	;;#ASMEND
	;;#ASMSTART
	v_dot2_f32_f16 v7, v11, v15, v7
	;;#ASMEND
	;;#ASMSTART
	v_dot2_f32_f16 v7, v12, v16, v7
	;;#ASMEND
	s_waitcnt lgkmcnt(1)
	;;#ASMSTART
	v_dot2_f32_f16 v5, v9, v17, v5
	;;#ASMEND
	;;#ASMSTART
	v_dot2_f32_f16 v5, v10, v18, v5
	;;#ASMEND
	;;#ASMSTART
	v_dot2_f32_f16 v5, v11, v19, v5
	;;#ASMEND
	;;#ASMSTART
	v_dot2_f32_f16 v5, v12, v20, v5
	;;#ASMEND
	;; [unrolled: 13-line block ×3, first 2 shown]
	;;#ASMSTART
	v_dot2_f32_f16 v6, v21, v17, v6
	;;#ASMEND
	;;#ASMSTART
	v_dot2_f32_f16 v6, v22, v18, v6
	;;#ASMEND
	;; [unrolled: 3-line block ×4, first 2 shown]
	s_barrier
	buffer_gl0_inv
	s_clause 0x1
	global_load_dwordx4 v[9:12], v[1:2], off offset:384
	global_load_dwordx4 v[13:16], v[3:4], off offset:384
	s_waitcnt vmcnt(1)
	ds_write_b128 v96, v[9:12]
	s_waitcnt vmcnt(0)
	ds_write_b128 v97, v[13:16]
	s_waitcnt lgkmcnt(0)
	s_barrier
	buffer_gl0_inv
	ds_read_b128 v[9:12], v98
	ds_read_b128 v[13:16], v93 offset:384
	ds_read_b128 v[17:20], v93 offset:1536
	ds_read_b128 v[21:24], v98 offset:4608
	s_waitcnt lgkmcnt(2)
	;;#ASMSTART
	v_dot2_f32_f16 v7, v9, v13, v7
	;;#ASMEND
	;;#ASMSTART
	v_dot2_f32_f16 v7, v10, v14, v7
	;;#ASMEND
	;;#ASMSTART
	v_dot2_f32_f16 v7, v11, v15, v7
	;;#ASMEND
	;;#ASMSTART
	v_dot2_f32_f16 v7, v12, v16, v7
	;;#ASMEND
	s_waitcnt lgkmcnt(1)
	;;#ASMSTART
	v_dot2_f32_f16 v5, v9, v17, v5
	;;#ASMEND
	;;#ASMSTART
	v_dot2_f32_f16 v5, v10, v18, v5
	;;#ASMEND
	;;#ASMSTART
	v_dot2_f32_f16 v5, v11, v19, v5
	;;#ASMEND
	;;#ASMSTART
	v_dot2_f32_f16 v5, v12, v20, v5
	;;#ASMEND
	s_waitcnt lgkmcnt(0)
	;;#ASMSTART
	v_dot2_f32_f16 v8, v21, v13, v8
	;;#ASMEND
	;;#ASMSTART
	v_dot2_f32_f16 v8, v22, v14, v8
	;;#ASMEND
	;;#ASMSTART
	v_dot2_f32_f16 v8, v23, v15, v8
	;;#ASMEND
	;;#ASMSTART
	v_dot2_f32_f16 v8, v24, v16, v8
	;;#ASMEND
	;;#ASMSTART
	v_dot2_f32_f16 v6, v21, v17, v6
	;;#ASMEND
	;;#ASMSTART
	v_dot2_f32_f16 v6, v22, v18, v6
	;;#ASMEND
	;;#ASMSTART
	v_dot2_f32_f16 v6, v23, v19, v6
	;;#ASMEND
	;;#ASMSTART
	v_dot2_f32_f16 v6, v24, v20, v6
	;;#ASMEND
	ds_read_b128 v[9:12], v98 offset:16
	ds_read_b128 v[13:16], v93 offset:400
	ds_read_b128 v[17:20], v93 offset:1552
	ds_read_b128 v[21:24], v98 offset:4624
	s_waitcnt lgkmcnt(2)
	;;#ASMSTART
	v_dot2_f32_f16 v7, v9, v13, v7
	;;#ASMEND
	;;#ASMSTART
	v_dot2_f32_f16 v7, v10, v14, v7
	;;#ASMEND
	;;#ASMSTART
	v_dot2_f32_f16 v7, v11, v15, v7
	;;#ASMEND
	;;#ASMSTART
	v_dot2_f32_f16 v7, v12, v16, v7
	;;#ASMEND
	s_waitcnt lgkmcnt(1)
	;;#ASMSTART
	v_dot2_f32_f16 v5, v9, v17, v5
	;;#ASMEND
	;;#ASMSTART
	v_dot2_f32_f16 v5, v10, v18, v5
	;;#ASMEND
	;;#ASMSTART
	v_dot2_f32_f16 v5, v11, v19, v5
	;;#ASMEND
	;;#ASMSTART
	v_dot2_f32_f16 v5, v12, v20, v5
	;;#ASMEND
	s_waitcnt lgkmcnt(0)
	;;#ASMSTART
	v_dot2_f32_f16 v8, v21, v13, v8
	;;#ASMEND
	;;#ASMSTART
	v_dot2_f32_f16 v8, v22, v14, v8
	;;#ASMEND
	;;#ASMSTART
	v_dot2_f32_f16 v8, v23, v15, v8
	;;#ASMEND
	;;#ASMSTART
	v_dot2_f32_f16 v8, v24, v16, v8
	;;#ASMEND
	;;#ASMSTART
	v_dot2_f32_f16 v6, v21, v17, v6
	;;#ASMEND
	;;#ASMSTART
	v_dot2_f32_f16 v6, v22, v18, v6
	;;#ASMEND
	;;#ASMSTART
	v_dot2_f32_f16 v6, v23, v19, v6
	;;#ASMEND
	;;#ASMSTART
	v_dot2_f32_f16 v6, v24, v20, v6
	;;#ASMEND
	ds_read_b128 v[9:12], v98 offset:32
	ds_read_b128 v[13:16], v93 offset:416
	ds_read_b128 v[17:20], v93 offset:1568
	ds_read_b128 v[21:24], v98 offset:4640
	s_waitcnt lgkmcnt(2)
	;;#ASMSTART
	v_dot2_f32_f16 v7, v9, v13, v7
	;;#ASMEND
	;;#ASMSTART
	v_dot2_f32_f16 v7, v10, v14, v7
	;;#ASMEND
	;;#ASMSTART
	v_dot2_f32_f16 v7, v11, v15, v7
	;;#ASMEND
	;;#ASMSTART
	v_dot2_f32_f16 v7, v12, v16, v7
	;;#ASMEND
	s_waitcnt lgkmcnt(1)
	;;#ASMSTART
	v_dot2_f32_f16 v5, v9, v17, v5
	;;#ASMEND
	;;#ASMSTART
	v_dot2_f32_f16 v5, v10, v18, v5
	;;#ASMEND
	;;#ASMSTART
	v_dot2_f32_f16 v5, v11, v19, v5
	;;#ASMEND
	;;#ASMSTART
	v_dot2_f32_f16 v5, v12, v20, v5
	;;#ASMEND
	s_waitcnt lgkmcnt(0)
	;;#ASMSTART
	v_dot2_f32_f16 v8, v21, v13, v8
	;;#ASMEND
	;;#ASMSTART
	v_dot2_f32_f16 v8, v22, v14, v8
	;;#ASMEND
	;;#ASMSTART
	v_dot2_f32_f16 v8, v23, v15, v8
	;;#ASMEND
	;;#ASMSTART
	v_dot2_f32_f16 v8, v24, v16, v8
	;;#ASMEND
	;;#ASMSTART
	v_dot2_f32_f16 v6, v21, v17, v6
	;;#ASMEND
	;;#ASMSTART
	v_dot2_f32_f16 v6, v22, v18, v6
	;;#ASMEND
	;;#ASMSTART
	v_dot2_f32_f16 v6, v23, v19, v6
	;;#ASMEND
	;;#ASMSTART
	v_dot2_f32_f16 v6, v24, v20, v6
	;;#ASMEND
	ds_read_b128 v[9:12], v98 offset:48
	ds_read_b128 v[13:16], v93 offset:432
	ds_read_b128 v[17:20], v93 offset:1584
	ds_read_b128 v[21:24], v98 offset:4656
	s_waitcnt lgkmcnt(2)
	;;#ASMSTART
	v_dot2_f32_f16 v7, v9, v13, v7
	;;#ASMEND
	;;#ASMSTART
	v_dot2_f32_f16 v7, v10, v14, v7
	;;#ASMEND
	;;#ASMSTART
	v_dot2_f32_f16 v7, v11, v15, v7
	;;#ASMEND
	;;#ASMSTART
	v_dot2_f32_f16 v7, v12, v16, v7
	;;#ASMEND
	s_waitcnt lgkmcnt(1)
	;;#ASMSTART
	v_dot2_f32_f16 v5, v9, v17, v5
	;;#ASMEND
	;;#ASMSTART
	v_dot2_f32_f16 v5, v10, v18, v5
	;;#ASMEND
	;;#ASMSTART
	v_dot2_f32_f16 v5, v11, v19, v5
	;;#ASMEND
	;;#ASMSTART
	v_dot2_f32_f16 v5, v12, v20, v5
	;;#ASMEND
	s_waitcnt lgkmcnt(0)
	;;#ASMSTART
	v_dot2_f32_f16 v8, v21, v13, v8
	;;#ASMEND
	;;#ASMSTART
	v_dot2_f32_f16 v8, v22, v14, v8
	;;#ASMEND
	;;#ASMSTART
	v_dot2_f32_f16 v8, v23, v15, v8
	;;#ASMEND
	;;#ASMSTART
	v_dot2_f32_f16 v8, v24, v16, v8
	;;#ASMEND
	;;#ASMSTART
	v_dot2_f32_f16 v6, v21, v17, v6
	;;#ASMEND
	;;#ASMSTART
	v_dot2_f32_f16 v6, v22, v18, v6
	;;#ASMEND
	;;#ASMSTART
	v_dot2_f32_f16 v6, v23, v19, v6
	;;#ASMEND
	;;#ASMSTART
	v_dot2_f32_f16 v6, v24, v20, v6
	;;#ASMEND
	ds_read_b128 v[9:12], v98 offset:64
	ds_read_b128 v[13:16], v93 offset:448
	ds_read_b128 v[17:20], v93 offset:1600
	ds_read_b128 v[21:24], v98 offset:4672
	s_waitcnt lgkmcnt(2)
	;;#ASMSTART
	v_dot2_f32_f16 v7, v9, v13, v7
	;;#ASMEND
	;;#ASMSTART
	v_dot2_f32_f16 v7, v10, v14, v7
	;;#ASMEND
	;;#ASMSTART
	v_dot2_f32_f16 v7, v11, v15, v7
	;;#ASMEND
	;;#ASMSTART
	v_dot2_f32_f16 v7, v12, v16, v7
	;;#ASMEND
	s_waitcnt lgkmcnt(1)
	;;#ASMSTART
	v_dot2_f32_f16 v5, v9, v17, v5
	;;#ASMEND
	;;#ASMSTART
	v_dot2_f32_f16 v5, v10, v18, v5
	;;#ASMEND
	;;#ASMSTART
	v_dot2_f32_f16 v5, v11, v19, v5
	;;#ASMEND
	;;#ASMSTART
	v_dot2_f32_f16 v5, v12, v20, v5
	;;#ASMEND
	s_waitcnt lgkmcnt(0)
	;;#ASMSTART
	v_dot2_f32_f16 v8, v21, v13, v8
	;;#ASMEND
	;;#ASMSTART
	v_dot2_f32_f16 v8, v22, v14, v8
	;;#ASMEND
	;;#ASMSTART
	v_dot2_f32_f16 v8, v23, v15, v8
	;;#ASMEND
	;;#ASMSTART
	v_dot2_f32_f16 v8, v24, v16, v8
	;;#ASMEND
	;;#ASMSTART
	v_dot2_f32_f16 v6, v21, v17, v6
	;;#ASMEND
	;;#ASMSTART
	v_dot2_f32_f16 v6, v22, v18, v6
	;;#ASMEND
	;;#ASMSTART
	v_dot2_f32_f16 v6, v23, v19, v6
	;;#ASMEND
	;;#ASMSTART
	v_dot2_f32_f16 v6, v24, v20, v6
	;;#ASMEND
	ds_read_b128 v[9:12], v98 offset:80
	ds_read_b128 v[13:16], v93 offset:464
	ds_read_b128 v[17:20], v93 offset:1616
	ds_read_b128 v[21:24], v98 offset:4688
	s_waitcnt lgkmcnt(2)
	;;#ASMSTART
	v_dot2_f32_f16 v7, v9, v13, v7
	;;#ASMEND
	;;#ASMSTART
	v_dot2_f32_f16 v7, v10, v14, v7
	;;#ASMEND
	;;#ASMSTART
	v_dot2_f32_f16 v7, v11, v15, v7
	;;#ASMEND
	;;#ASMSTART
	v_dot2_f32_f16 v7, v12, v16, v7
	;;#ASMEND
	s_waitcnt lgkmcnt(1)
	;;#ASMSTART
	v_dot2_f32_f16 v5, v9, v17, v5
	;;#ASMEND
	;;#ASMSTART
	v_dot2_f32_f16 v5, v10, v18, v5
	;;#ASMEND
	;;#ASMSTART
	v_dot2_f32_f16 v5, v11, v19, v5
	;;#ASMEND
	;;#ASMSTART
	v_dot2_f32_f16 v5, v12, v20, v5
	;;#ASMEND
	s_waitcnt lgkmcnt(0)
	;;#ASMSTART
	v_dot2_f32_f16 v8, v21, v13, v8
	;;#ASMEND
	;;#ASMSTART
	v_dot2_f32_f16 v8, v22, v14, v8
	;;#ASMEND
	;;#ASMSTART
	v_dot2_f32_f16 v8, v23, v15, v8
	;;#ASMEND
	;;#ASMSTART
	v_dot2_f32_f16 v8, v24, v16, v8
	;;#ASMEND
	;;#ASMSTART
	v_dot2_f32_f16 v6, v21, v17, v6
	;;#ASMEND
	;;#ASMSTART
	v_dot2_f32_f16 v6, v22, v18, v6
	;;#ASMEND
	;;#ASMSTART
	v_dot2_f32_f16 v6, v23, v19, v6
	;;#ASMEND
	;;#ASMSTART
	v_dot2_f32_f16 v6, v24, v20, v6
	;;#ASMEND
	ds_read_b128 v[9:12], v98 offset:96
	ds_read_b128 v[13:16], v93 offset:480
	ds_read_b128 v[17:20], v93 offset:1632
	ds_read_b128 v[21:24], v98 offset:4704
	s_waitcnt lgkmcnt(2)
	;;#ASMSTART
	v_dot2_f32_f16 v7, v9, v13, v7
	;;#ASMEND
	;;#ASMSTART
	v_dot2_f32_f16 v7, v10, v14, v7
	;;#ASMEND
	;;#ASMSTART
	v_dot2_f32_f16 v7, v11, v15, v7
	;;#ASMEND
	;;#ASMSTART
	v_dot2_f32_f16 v7, v12, v16, v7
	;;#ASMEND
	s_waitcnt lgkmcnt(1)
	;;#ASMSTART
	v_dot2_f32_f16 v5, v9, v17, v5
	;;#ASMEND
	;;#ASMSTART
	v_dot2_f32_f16 v5, v10, v18, v5
	;;#ASMEND
	;;#ASMSTART
	v_dot2_f32_f16 v5, v11, v19, v5
	;;#ASMEND
	;;#ASMSTART
	v_dot2_f32_f16 v5, v12, v20, v5
	;;#ASMEND
	s_waitcnt lgkmcnt(0)
	;;#ASMSTART
	v_dot2_f32_f16 v8, v21, v13, v8
	;;#ASMEND
	;;#ASMSTART
	v_dot2_f32_f16 v8, v22, v14, v8
	;;#ASMEND
	;;#ASMSTART
	v_dot2_f32_f16 v8, v23, v15, v8
	;;#ASMEND
	;;#ASMSTART
	v_dot2_f32_f16 v8, v24, v16, v8
	;;#ASMEND
	;;#ASMSTART
	v_dot2_f32_f16 v6, v21, v17, v6
	;;#ASMEND
	;;#ASMSTART
	v_dot2_f32_f16 v6, v22, v18, v6
	;;#ASMEND
	;;#ASMSTART
	v_dot2_f32_f16 v6, v23, v19, v6
	;;#ASMEND
	;;#ASMSTART
	v_dot2_f32_f16 v6, v24, v20, v6
	;;#ASMEND
	ds_read_b128 v[9:12], v98 offset:112
	ds_read_b128 v[13:16], v93 offset:496
	ds_read_b128 v[17:20], v93 offset:1648
	;; [unrolled: 1-line block ×3, first 2 shown]
	s_waitcnt lgkmcnt(2)
	;;#ASMSTART
	v_dot2_f32_f16 v7, v9, v13, v7
	;;#ASMEND
	;;#ASMSTART
	v_dot2_f32_f16 v7, v10, v14, v7
	;;#ASMEND
	;;#ASMSTART
	v_dot2_f32_f16 v7, v11, v15, v7
	;;#ASMEND
	;;#ASMSTART
	v_dot2_f32_f16 v7, v12, v16, v7
	;;#ASMEND
	s_waitcnt lgkmcnt(1)
	;;#ASMSTART
	v_dot2_f32_f16 v5, v9, v17, v5
	;;#ASMEND
	;;#ASMSTART
	v_dot2_f32_f16 v5, v10, v18, v5
	;;#ASMEND
	;;#ASMSTART
	v_dot2_f32_f16 v5, v11, v19, v5
	;;#ASMEND
	;;#ASMSTART
	v_dot2_f32_f16 v5, v12, v20, v5
	;;#ASMEND
	;; [unrolled: 13-line block ×3, first 2 shown]
	;;#ASMSTART
	v_dot2_f32_f16 v6, v21, v17, v6
	;;#ASMEND
	;;#ASMSTART
	v_dot2_f32_f16 v6, v22, v18, v6
	;;#ASMEND
	;; [unrolled: 3-line block ×4, first 2 shown]
	s_barrier
	buffer_gl0_inv
	s_clause 0x1
	global_load_dwordx4 v[9:12], v[1:2], off offset:512
	global_load_dwordx4 v[13:16], v[3:4], off offset:512
	s_waitcnt vmcnt(1)
	ds_write_b128 v96, v[9:12]
	s_waitcnt vmcnt(0)
	ds_write_b128 v97, v[13:16]
	s_waitcnt lgkmcnt(0)
	s_barrier
	buffer_gl0_inv
	ds_read_b128 v[9:12], v98
	ds_read_b128 v[13:16], v93 offset:512
	ds_read_b128 v[17:20], v93 offset:1664
	ds_read_b128 v[21:24], v98 offset:4608
	s_waitcnt lgkmcnt(2)
	;;#ASMSTART
	v_dot2_f32_f16 v7, v9, v13, v7
	;;#ASMEND
	;;#ASMSTART
	v_dot2_f32_f16 v7, v10, v14, v7
	;;#ASMEND
	;;#ASMSTART
	v_dot2_f32_f16 v7, v11, v15, v7
	;;#ASMEND
	;;#ASMSTART
	v_dot2_f32_f16 v7, v12, v16, v7
	;;#ASMEND
	s_waitcnt lgkmcnt(1)
	;;#ASMSTART
	v_dot2_f32_f16 v5, v9, v17, v5
	;;#ASMEND
	;;#ASMSTART
	v_dot2_f32_f16 v5, v10, v18, v5
	;;#ASMEND
	;;#ASMSTART
	v_dot2_f32_f16 v5, v11, v19, v5
	;;#ASMEND
	;;#ASMSTART
	v_dot2_f32_f16 v5, v12, v20, v5
	;;#ASMEND
	s_waitcnt lgkmcnt(0)
	;;#ASMSTART
	v_dot2_f32_f16 v8, v21, v13, v8
	;;#ASMEND
	;;#ASMSTART
	v_dot2_f32_f16 v8, v22, v14, v8
	;;#ASMEND
	;;#ASMSTART
	v_dot2_f32_f16 v8, v23, v15, v8
	;;#ASMEND
	;;#ASMSTART
	v_dot2_f32_f16 v8, v24, v16, v8
	;;#ASMEND
	;;#ASMSTART
	v_dot2_f32_f16 v6, v21, v17, v6
	;;#ASMEND
	;;#ASMSTART
	v_dot2_f32_f16 v6, v22, v18, v6
	;;#ASMEND
	;;#ASMSTART
	v_dot2_f32_f16 v6, v23, v19, v6
	;;#ASMEND
	;;#ASMSTART
	v_dot2_f32_f16 v6, v24, v20, v6
	;;#ASMEND
	ds_read_b128 v[9:12], v98 offset:16
	ds_read_b128 v[13:16], v93 offset:528
	ds_read_b128 v[17:20], v93 offset:1680
	ds_read_b128 v[21:24], v98 offset:4624
	s_waitcnt lgkmcnt(2)
	;;#ASMSTART
	v_dot2_f32_f16 v7, v9, v13, v7
	;;#ASMEND
	;;#ASMSTART
	v_dot2_f32_f16 v7, v10, v14, v7
	;;#ASMEND
	;;#ASMSTART
	v_dot2_f32_f16 v7, v11, v15, v7
	;;#ASMEND
	;;#ASMSTART
	v_dot2_f32_f16 v7, v12, v16, v7
	;;#ASMEND
	s_waitcnt lgkmcnt(1)
	;;#ASMSTART
	v_dot2_f32_f16 v5, v9, v17, v5
	;;#ASMEND
	;;#ASMSTART
	v_dot2_f32_f16 v5, v10, v18, v5
	;;#ASMEND
	;;#ASMSTART
	v_dot2_f32_f16 v5, v11, v19, v5
	;;#ASMEND
	;;#ASMSTART
	v_dot2_f32_f16 v5, v12, v20, v5
	;;#ASMEND
	s_waitcnt lgkmcnt(0)
	;;#ASMSTART
	v_dot2_f32_f16 v8, v21, v13, v8
	;;#ASMEND
	;;#ASMSTART
	v_dot2_f32_f16 v8, v22, v14, v8
	;;#ASMEND
	;;#ASMSTART
	v_dot2_f32_f16 v8, v23, v15, v8
	;;#ASMEND
	;;#ASMSTART
	v_dot2_f32_f16 v8, v24, v16, v8
	;;#ASMEND
	;;#ASMSTART
	v_dot2_f32_f16 v6, v21, v17, v6
	;;#ASMEND
	;;#ASMSTART
	v_dot2_f32_f16 v6, v22, v18, v6
	;;#ASMEND
	;;#ASMSTART
	v_dot2_f32_f16 v6, v23, v19, v6
	;;#ASMEND
	;;#ASMSTART
	v_dot2_f32_f16 v6, v24, v20, v6
	;;#ASMEND
	ds_read_b128 v[9:12], v98 offset:32
	;; [unrolled: 55-line block ×7, first 2 shown]
	ds_read_b128 v[13:16], v93 offset:624
	ds_read_b128 v[17:20], v93 offset:1776
	;; [unrolled: 1-line block ×3, first 2 shown]
	s_waitcnt lgkmcnt(2)
	;;#ASMSTART
	v_dot2_f32_f16 v7, v9, v13, v7
	;;#ASMEND
	;;#ASMSTART
	v_dot2_f32_f16 v7, v10, v14, v7
	;;#ASMEND
	;;#ASMSTART
	v_dot2_f32_f16 v7, v11, v15, v7
	;;#ASMEND
	;;#ASMSTART
	v_dot2_f32_f16 v7, v12, v16, v7
	;;#ASMEND
	s_waitcnt lgkmcnt(1)
	;;#ASMSTART
	v_dot2_f32_f16 v5, v9, v17, v5
	;;#ASMEND
	;;#ASMSTART
	v_dot2_f32_f16 v5, v10, v18, v5
	;;#ASMEND
	;;#ASMSTART
	v_dot2_f32_f16 v5, v11, v19, v5
	;;#ASMEND
	;;#ASMSTART
	v_dot2_f32_f16 v5, v12, v20, v5
	;;#ASMEND
	;; [unrolled: 13-line block ×3, first 2 shown]
	;;#ASMSTART
	v_dot2_f32_f16 v6, v21, v17, v6
	;;#ASMEND
	;;#ASMSTART
	v_dot2_f32_f16 v6, v22, v18, v6
	;;#ASMEND
	;; [unrolled: 3-line block ×4, first 2 shown]
	s_barrier
	buffer_gl0_inv
	s_clause 0x1
	global_load_dwordx4 v[9:12], v[1:2], off offset:640
	global_load_dwordx4 v[13:16], v[3:4], off offset:640
	s_waitcnt vmcnt(1)
	ds_write_b128 v96, v[9:12]
	s_waitcnt vmcnt(0)
	ds_write_b128 v97, v[13:16]
	s_waitcnt lgkmcnt(0)
	s_barrier
	buffer_gl0_inv
	ds_read_b128 v[9:12], v98
	ds_read_b128 v[13:16], v93 offset:640
	ds_read_b128 v[17:20], v93 offset:1792
	ds_read_b128 v[21:24], v98 offset:4608
	s_waitcnt lgkmcnt(2)
	;;#ASMSTART
	v_dot2_f32_f16 v7, v9, v13, v7
	;;#ASMEND
	;;#ASMSTART
	v_dot2_f32_f16 v7, v10, v14, v7
	;;#ASMEND
	;;#ASMSTART
	v_dot2_f32_f16 v7, v11, v15, v7
	;;#ASMEND
	;;#ASMSTART
	v_dot2_f32_f16 v7, v12, v16, v7
	;;#ASMEND
	s_waitcnt lgkmcnt(1)
	;;#ASMSTART
	v_dot2_f32_f16 v5, v9, v17, v5
	;;#ASMEND
	;;#ASMSTART
	v_dot2_f32_f16 v5, v10, v18, v5
	;;#ASMEND
	;;#ASMSTART
	v_dot2_f32_f16 v5, v11, v19, v5
	;;#ASMEND
	;;#ASMSTART
	v_dot2_f32_f16 v5, v12, v20, v5
	;;#ASMEND
	s_waitcnt lgkmcnt(0)
	;;#ASMSTART
	v_dot2_f32_f16 v8, v21, v13, v8
	;;#ASMEND
	;;#ASMSTART
	v_dot2_f32_f16 v8, v22, v14, v8
	;;#ASMEND
	;;#ASMSTART
	v_dot2_f32_f16 v8, v23, v15, v8
	;;#ASMEND
	;;#ASMSTART
	v_dot2_f32_f16 v8, v24, v16, v8
	;;#ASMEND
	;;#ASMSTART
	v_dot2_f32_f16 v6, v21, v17, v6
	;;#ASMEND
	;;#ASMSTART
	v_dot2_f32_f16 v6, v22, v18, v6
	;;#ASMEND
	;;#ASMSTART
	v_dot2_f32_f16 v6, v23, v19, v6
	;;#ASMEND
	;;#ASMSTART
	v_dot2_f32_f16 v6, v24, v20, v6
	;;#ASMEND
	ds_read_b128 v[9:12], v98 offset:16
	ds_read_b128 v[13:16], v93 offset:656
	ds_read_b128 v[17:20], v93 offset:1808
	ds_read_b128 v[21:24], v98 offset:4624
	s_waitcnt lgkmcnt(2)
	;;#ASMSTART
	v_dot2_f32_f16 v7, v9, v13, v7
	;;#ASMEND
	;;#ASMSTART
	v_dot2_f32_f16 v7, v10, v14, v7
	;;#ASMEND
	;;#ASMSTART
	v_dot2_f32_f16 v7, v11, v15, v7
	;;#ASMEND
	;;#ASMSTART
	v_dot2_f32_f16 v7, v12, v16, v7
	;;#ASMEND
	s_waitcnt lgkmcnt(1)
	;;#ASMSTART
	v_dot2_f32_f16 v5, v9, v17, v5
	;;#ASMEND
	;;#ASMSTART
	v_dot2_f32_f16 v5, v10, v18, v5
	;;#ASMEND
	;;#ASMSTART
	v_dot2_f32_f16 v5, v11, v19, v5
	;;#ASMEND
	;;#ASMSTART
	v_dot2_f32_f16 v5, v12, v20, v5
	;;#ASMEND
	s_waitcnt lgkmcnt(0)
	;;#ASMSTART
	v_dot2_f32_f16 v8, v21, v13, v8
	;;#ASMEND
	;;#ASMSTART
	v_dot2_f32_f16 v8, v22, v14, v8
	;;#ASMEND
	;;#ASMSTART
	v_dot2_f32_f16 v8, v23, v15, v8
	;;#ASMEND
	;;#ASMSTART
	v_dot2_f32_f16 v8, v24, v16, v8
	;;#ASMEND
	;;#ASMSTART
	v_dot2_f32_f16 v6, v21, v17, v6
	;;#ASMEND
	;;#ASMSTART
	v_dot2_f32_f16 v6, v22, v18, v6
	;;#ASMEND
	;;#ASMSTART
	v_dot2_f32_f16 v6, v23, v19, v6
	;;#ASMEND
	;;#ASMSTART
	v_dot2_f32_f16 v6, v24, v20, v6
	;;#ASMEND
	ds_read_b128 v[9:12], v98 offset:32
	;; [unrolled: 55-line block ×7, first 2 shown]
	ds_read_b128 v[13:16], v93 offset:752
	ds_read_b128 v[17:20], v93 offset:1904
	ds_read_b128 v[21:24], v98 offset:4720
	s_waitcnt lgkmcnt(2)
	;;#ASMSTART
	v_dot2_f32_f16 v7, v9, v13, v7
	;;#ASMEND
	;;#ASMSTART
	v_dot2_f32_f16 v7, v10, v14, v7
	;;#ASMEND
	;;#ASMSTART
	v_dot2_f32_f16 v7, v11, v15, v7
	;;#ASMEND
	;;#ASMSTART
	v_dot2_f32_f16 v7, v12, v16, v7
	;;#ASMEND
	s_waitcnt lgkmcnt(1)
	;;#ASMSTART
	v_dot2_f32_f16 v5, v9, v17, v5
	;;#ASMEND
	;;#ASMSTART
	v_dot2_f32_f16 v5, v10, v18, v5
	;;#ASMEND
	;;#ASMSTART
	v_dot2_f32_f16 v5, v11, v19, v5
	;;#ASMEND
	;;#ASMSTART
	v_dot2_f32_f16 v5, v12, v20, v5
	;;#ASMEND
	s_waitcnt lgkmcnt(0)
	;;#ASMSTART
	v_dot2_f32_f16 v8, v21, v13, v8
	;;#ASMEND
	;;#ASMSTART
	v_dot2_f32_f16 v8, v22, v14, v8
	;;#ASMEND
	;;#ASMSTART
	v_dot2_f32_f16 v8, v23, v15, v8
	;;#ASMEND
	;;#ASMSTART
	v_dot2_f32_f16 v8, v24, v16, v8
	;;#ASMEND
	;;#ASMSTART
	v_dot2_f32_f16 v6, v21, v17, v6
	;;#ASMEND
	;;#ASMSTART
	v_dot2_f32_f16 v6, v22, v18, v6
	;;#ASMEND
	;; [unrolled: 3-line block ×4, first 2 shown]
	s_barrier
	buffer_gl0_inv
	s_clause 0x1
	global_load_dwordx4 v[9:12], v[1:2], off offset:768
	global_load_dwordx4 v[13:16], v[3:4], off offset:768
	s_waitcnt vmcnt(1)
	ds_write_b128 v96, v[9:12]
	s_waitcnt vmcnt(0)
	ds_write_b128 v97, v[13:16]
	s_waitcnt lgkmcnt(0)
	s_barrier
	buffer_gl0_inv
	ds_read_b128 v[9:12], v98
	ds_read_b128 v[13:16], v93 offset:768
	ds_read_b128 v[17:20], v93 offset:1920
	ds_read_b128 v[21:24], v98 offset:4608
	s_waitcnt lgkmcnt(2)
	;;#ASMSTART
	v_dot2_f32_f16 v7, v9, v13, v7
	;;#ASMEND
	;;#ASMSTART
	v_dot2_f32_f16 v7, v10, v14, v7
	;;#ASMEND
	;;#ASMSTART
	v_dot2_f32_f16 v7, v11, v15, v7
	;;#ASMEND
	;;#ASMSTART
	v_dot2_f32_f16 v7, v12, v16, v7
	;;#ASMEND
	s_waitcnt lgkmcnt(1)
	;;#ASMSTART
	v_dot2_f32_f16 v5, v9, v17, v5
	;;#ASMEND
	;;#ASMSTART
	v_dot2_f32_f16 v5, v10, v18, v5
	;;#ASMEND
	;;#ASMSTART
	v_dot2_f32_f16 v5, v11, v19, v5
	;;#ASMEND
	;;#ASMSTART
	v_dot2_f32_f16 v5, v12, v20, v5
	;;#ASMEND
	s_waitcnt lgkmcnt(0)
	;;#ASMSTART
	v_dot2_f32_f16 v8, v21, v13, v8
	;;#ASMEND
	;;#ASMSTART
	v_dot2_f32_f16 v8, v22, v14, v8
	;;#ASMEND
	;;#ASMSTART
	v_dot2_f32_f16 v8, v23, v15, v8
	;;#ASMEND
	;;#ASMSTART
	v_dot2_f32_f16 v8, v24, v16, v8
	;;#ASMEND
	;;#ASMSTART
	v_dot2_f32_f16 v6, v21, v17, v6
	;;#ASMEND
	;;#ASMSTART
	v_dot2_f32_f16 v6, v22, v18, v6
	;;#ASMEND
	;;#ASMSTART
	v_dot2_f32_f16 v6, v23, v19, v6
	;;#ASMEND
	;;#ASMSTART
	v_dot2_f32_f16 v6, v24, v20, v6
	;;#ASMEND
	ds_read_b128 v[9:12], v98 offset:16
	ds_read_b128 v[13:16], v93 offset:784
	ds_read_b128 v[17:20], v93 offset:1936
	ds_read_b128 v[21:24], v98 offset:4624
	s_waitcnt lgkmcnt(2)
	;;#ASMSTART
	v_dot2_f32_f16 v7, v9, v13, v7
	;;#ASMEND
	;;#ASMSTART
	v_dot2_f32_f16 v7, v10, v14, v7
	;;#ASMEND
	;;#ASMSTART
	v_dot2_f32_f16 v7, v11, v15, v7
	;;#ASMEND
	;;#ASMSTART
	v_dot2_f32_f16 v7, v12, v16, v7
	;;#ASMEND
	s_waitcnt lgkmcnt(1)
	;;#ASMSTART
	v_dot2_f32_f16 v5, v9, v17, v5
	;;#ASMEND
	;;#ASMSTART
	v_dot2_f32_f16 v5, v10, v18, v5
	;;#ASMEND
	;;#ASMSTART
	v_dot2_f32_f16 v5, v11, v19, v5
	;;#ASMEND
	;;#ASMSTART
	v_dot2_f32_f16 v5, v12, v20, v5
	;;#ASMEND
	s_waitcnt lgkmcnt(0)
	;;#ASMSTART
	v_dot2_f32_f16 v8, v21, v13, v8
	;;#ASMEND
	;;#ASMSTART
	v_dot2_f32_f16 v8, v22, v14, v8
	;;#ASMEND
	;;#ASMSTART
	v_dot2_f32_f16 v8, v23, v15, v8
	;;#ASMEND
	;;#ASMSTART
	v_dot2_f32_f16 v8, v24, v16, v8
	;;#ASMEND
	;;#ASMSTART
	v_dot2_f32_f16 v6, v21, v17, v6
	;;#ASMEND
	;;#ASMSTART
	v_dot2_f32_f16 v6, v22, v18, v6
	;;#ASMEND
	;;#ASMSTART
	v_dot2_f32_f16 v6, v23, v19, v6
	;;#ASMEND
	;;#ASMSTART
	v_dot2_f32_f16 v6, v24, v20, v6
	;;#ASMEND
	ds_read_b128 v[9:12], v98 offset:32
	;; [unrolled: 55-line block ×7, first 2 shown]
	ds_read_b128 v[13:16], v93 offset:880
	ds_read_b128 v[17:20], v93 offset:2032
	;; [unrolled: 1-line block ×3, first 2 shown]
	s_waitcnt lgkmcnt(2)
	;;#ASMSTART
	v_dot2_f32_f16 v7, v9, v13, v7
	;;#ASMEND
	;;#ASMSTART
	v_dot2_f32_f16 v7, v10, v14, v7
	;;#ASMEND
	;;#ASMSTART
	v_dot2_f32_f16 v7, v11, v15, v7
	;;#ASMEND
	;;#ASMSTART
	v_dot2_f32_f16 v7, v12, v16, v7
	;;#ASMEND
	s_waitcnt lgkmcnt(1)
	;;#ASMSTART
	v_dot2_f32_f16 v5, v9, v17, v5
	;;#ASMEND
	;;#ASMSTART
	v_dot2_f32_f16 v5, v10, v18, v5
	;;#ASMEND
	;;#ASMSTART
	v_dot2_f32_f16 v5, v11, v19, v5
	;;#ASMEND
	;;#ASMSTART
	v_dot2_f32_f16 v5, v12, v20, v5
	;;#ASMEND
	;; [unrolled: 13-line block ×3, first 2 shown]
	;;#ASMSTART
	v_dot2_f32_f16 v6, v21, v17, v6
	;;#ASMEND
	;;#ASMSTART
	v_dot2_f32_f16 v6, v22, v18, v6
	;;#ASMEND
	;; [unrolled: 3-line block ×4, first 2 shown]
	s_barrier
	buffer_gl0_inv
	s_clause 0x1
	global_load_dwordx4 v[9:12], v[1:2], off offset:896
	global_load_dwordx4 v[13:16], v[3:4], off offset:896
	s_waitcnt vmcnt(1)
	ds_write_b128 v96, v[9:12]
	s_waitcnt vmcnt(0)
	ds_write_b128 v97, v[13:16]
	s_waitcnt lgkmcnt(0)
	s_barrier
	buffer_gl0_inv
	ds_read_b128 v[9:12], v98
	ds_read_b128 v[13:16], v93 offset:896
	ds_read_b128 v[17:20], v93 offset:2048
	ds_read_b128 v[21:24], v98 offset:4608
	s_waitcnt lgkmcnt(2)
	;;#ASMSTART
	v_dot2_f32_f16 v7, v9, v13, v7
	;;#ASMEND
	;;#ASMSTART
	v_dot2_f32_f16 v7, v10, v14, v7
	;;#ASMEND
	;;#ASMSTART
	v_dot2_f32_f16 v7, v11, v15, v7
	;;#ASMEND
	;;#ASMSTART
	v_dot2_f32_f16 v7, v12, v16, v7
	;;#ASMEND
	s_waitcnt lgkmcnt(1)
	;;#ASMSTART
	v_dot2_f32_f16 v5, v9, v17, v5
	;;#ASMEND
	;;#ASMSTART
	v_dot2_f32_f16 v5, v10, v18, v5
	;;#ASMEND
	;;#ASMSTART
	v_dot2_f32_f16 v5, v11, v19, v5
	;;#ASMEND
	;;#ASMSTART
	v_dot2_f32_f16 v5, v12, v20, v5
	;;#ASMEND
	s_waitcnt lgkmcnt(0)
	;;#ASMSTART
	v_dot2_f32_f16 v8, v21, v13, v8
	;;#ASMEND
	;;#ASMSTART
	v_dot2_f32_f16 v8, v22, v14, v8
	;;#ASMEND
	;;#ASMSTART
	v_dot2_f32_f16 v8, v23, v15, v8
	;;#ASMEND
	;;#ASMSTART
	v_dot2_f32_f16 v8, v24, v16, v8
	;;#ASMEND
	;;#ASMSTART
	v_dot2_f32_f16 v6, v21, v17, v6
	;;#ASMEND
	;;#ASMSTART
	v_dot2_f32_f16 v6, v22, v18, v6
	;;#ASMEND
	;;#ASMSTART
	v_dot2_f32_f16 v6, v23, v19, v6
	;;#ASMEND
	;;#ASMSTART
	v_dot2_f32_f16 v6, v24, v20, v6
	;;#ASMEND
	ds_read_b128 v[9:12], v98 offset:16
	ds_read_b128 v[13:16], v93 offset:912
	ds_read_b128 v[17:20], v93 offset:2064
	ds_read_b128 v[21:24], v98 offset:4624
	s_waitcnt lgkmcnt(2)
	;;#ASMSTART
	v_dot2_f32_f16 v7, v9, v13, v7
	;;#ASMEND
	;;#ASMSTART
	v_dot2_f32_f16 v7, v10, v14, v7
	;;#ASMEND
	;;#ASMSTART
	v_dot2_f32_f16 v7, v11, v15, v7
	;;#ASMEND
	;;#ASMSTART
	v_dot2_f32_f16 v7, v12, v16, v7
	;;#ASMEND
	s_waitcnt lgkmcnt(1)
	;;#ASMSTART
	v_dot2_f32_f16 v5, v9, v17, v5
	;;#ASMEND
	;;#ASMSTART
	v_dot2_f32_f16 v5, v10, v18, v5
	;;#ASMEND
	;;#ASMSTART
	v_dot2_f32_f16 v5, v11, v19, v5
	;;#ASMEND
	;;#ASMSTART
	v_dot2_f32_f16 v5, v12, v20, v5
	;;#ASMEND
	s_waitcnt lgkmcnt(0)
	;;#ASMSTART
	v_dot2_f32_f16 v8, v21, v13, v8
	;;#ASMEND
	;;#ASMSTART
	v_dot2_f32_f16 v8, v22, v14, v8
	;;#ASMEND
	;;#ASMSTART
	v_dot2_f32_f16 v8, v23, v15, v8
	;;#ASMEND
	;;#ASMSTART
	v_dot2_f32_f16 v8, v24, v16, v8
	;;#ASMEND
	;;#ASMSTART
	v_dot2_f32_f16 v6, v21, v17, v6
	;;#ASMEND
	;;#ASMSTART
	v_dot2_f32_f16 v6, v22, v18, v6
	;;#ASMEND
	;;#ASMSTART
	v_dot2_f32_f16 v6, v23, v19, v6
	;;#ASMEND
	;;#ASMSTART
	v_dot2_f32_f16 v6, v24, v20, v6
	;;#ASMEND
	ds_read_b128 v[9:12], v98 offset:32
	;; [unrolled: 55-line block ×7, first 2 shown]
	ds_read_b128 v[13:16], v93 offset:1008
	ds_read_b128 v[17:20], v93 offset:2160
	;; [unrolled: 1-line block ×3, first 2 shown]
	s_waitcnt lgkmcnt(2)
	;;#ASMSTART
	v_dot2_f32_f16 v7, v9, v13, v7
	;;#ASMEND
	;;#ASMSTART
	v_dot2_f32_f16 v7, v10, v14, v7
	;;#ASMEND
	;;#ASMSTART
	v_dot2_f32_f16 v7, v11, v15, v7
	;;#ASMEND
	;;#ASMSTART
	v_dot2_f32_f16 v7, v12, v16, v7
	;;#ASMEND
	s_waitcnt lgkmcnt(1)
	;;#ASMSTART
	v_dot2_f32_f16 v5, v9, v17, v5
	;;#ASMEND
	;;#ASMSTART
	v_dot2_f32_f16 v5, v10, v18, v5
	;;#ASMEND
	;;#ASMSTART
	v_dot2_f32_f16 v5, v11, v19, v5
	;;#ASMEND
	;;#ASMSTART
	v_dot2_f32_f16 v5, v12, v20, v5
	;;#ASMEND
	;; [unrolled: 13-line block ×3, first 2 shown]
	;;#ASMSTART
	v_dot2_f32_f16 v6, v21, v17, v6
	;;#ASMEND
	;;#ASMSTART
	v_dot2_f32_f16 v6, v22, v18, v6
	;;#ASMEND
	;; [unrolled: 3-line block ×4, first 2 shown]
	s_barrier
	buffer_gl0_inv
	s_clause 0x1
	global_load_dwordx4 v[9:12], v[1:2], off offset:1024
	global_load_dwordx4 v[1:4], v[3:4], off offset:1024
	s_waitcnt vmcnt(1)
	ds_write_b128 v96, v[9:12]
	s_waitcnt vmcnt(0)
	ds_write_b128 v97, v[1:4]
	s_waitcnt lgkmcnt(0)
	s_barrier
	buffer_gl0_inv
	ds_read_b128 v[1:4], v98
	ds_read_b128 v[9:12], v93 offset:1024
	ds_read_b128 v[13:16], v93 offset:2176
	ds_read_b128 v[17:20], v98 offset:4608
	s_waitcnt lgkmcnt(2)
	;;#ASMSTART
	v_dot2_f32_f16 v7, v1, v9, v7
	;;#ASMEND
	;;#ASMSTART
	v_dot2_f32_f16 v7, v2, v10, v7
	;;#ASMEND
	;;#ASMSTART
	v_dot2_f32_f16 v7, v3, v11, v7
	;;#ASMEND
	;;#ASMSTART
	v_dot2_f32_f16 v7, v4, v12, v7
	;;#ASMEND
	s_waitcnt lgkmcnt(1)
	;;#ASMSTART
	v_dot2_f32_f16 v5, v1, v13, v5
	;;#ASMEND
	;;#ASMSTART
	v_dot2_f32_f16 v5, v2, v14, v5
	;;#ASMEND
	;;#ASMSTART
	v_dot2_f32_f16 v5, v3, v15, v5
	;;#ASMEND
	;;#ASMSTART
	v_dot2_f32_f16 v5, v4, v16, v5
	;;#ASMEND
	s_waitcnt lgkmcnt(0)
	;;#ASMSTART
	v_dot2_f32_f16 v8, v17, v9, v8
	;;#ASMEND
	;;#ASMSTART
	v_dot2_f32_f16 v8, v18, v10, v8
	;;#ASMEND
	;;#ASMSTART
	v_dot2_f32_f16 v8, v19, v11, v8
	;;#ASMEND
	;;#ASMSTART
	v_dot2_f32_f16 v8, v20, v12, v8
	;;#ASMEND
	;;#ASMSTART
	v_dot2_f32_f16 v6, v17, v13, v6
	;;#ASMEND
	;;#ASMSTART
	v_dot2_f32_f16 v6, v18, v14, v6
	;;#ASMEND
	;;#ASMSTART
	v_dot2_f32_f16 v6, v19, v15, v6
	;;#ASMEND
	;;#ASMSTART
	v_dot2_f32_f16 v6, v20, v16, v6
	;;#ASMEND
	ds_read_b128 v[1:4], v98 offset:16
	ds_read_b128 v[9:12], v93 offset:1040
	ds_read_b128 v[13:16], v93 offset:2192
	ds_read_b128 v[17:20], v98 offset:4624
	s_waitcnt lgkmcnt(2)
	;;#ASMSTART
	v_dot2_f32_f16 v7, v1, v9, v7
	;;#ASMEND
	;;#ASMSTART
	v_dot2_f32_f16 v7, v2, v10, v7
	;;#ASMEND
	;;#ASMSTART
	v_dot2_f32_f16 v7, v3, v11, v7
	;;#ASMEND
	;;#ASMSTART
	v_dot2_f32_f16 v7, v4, v12, v7
	;;#ASMEND
	s_waitcnt lgkmcnt(1)
	;;#ASMSTART
	v_dot2_f32_f16 v5, v1, v13, v5
	;;#ASMEND
	;;#ASMSTART
	v_dot2_f32_f16 v5, v2, v14, v5
	;;#ASMEND
	;;#ASMSTART
	v_dot2_f32_f16 v5, v3, v15, v5
	;;#ASMEND
	;;#ASMSTART
	v_dot2_f32_f16 v5, v4, v16, v5
	;;#ASMEND
	s_waitcnt lgkmcnt(0)
	;;#ASMSTART
	v_dot2_f32_f16 v8, v17, v9, v8
	;;#ASMEND
	;;#ASMSTART
	v_dot2_f32_f16 v8, v18, v10, v8
	;;#ASMEND
	;;#ASMSTART
	v_dot2_f32_f16 v8, v19, v11, v8
	;;#ASMEND
	;;#ASMSTART
	v_dot2_f32_f16 v8, v20, v12, v8
	;;#ASMEND
	;;#ASMSTART
	v_dot2_f32_f16 v6, v17, v13, v6
	;;#ASMEND
	;;#ASMSTART
	v_dot2_f32_f16 v6, v18, v14, v6
	;;#ASMEND
	;;#ASMSTART
	v_dot2_f32_f16 v6, v19, v15, v6
	;;#ASMEND
	;;#ASMSTART
	v_dot2_f32_f16 v6, v20, v16, v6
	;;#ASMEND
	ds_read_b128 v[1:4], v98 offset:32
	;; [unrolled: 55-line block ×7, first 2 shown]
	ds_read_b128 v[9:12], v93 offset:1136
	ds_read_b128 v[13:16], v93 offset:2288
	;; [unrolled: 1-line block ×3, first 2 shown]
	s_waitcnt lgkmcnt(2)
	;;#ASMSTART
	v_dot2_f32_f16 v7, v1, v9, v7
	;;#ASMEND
	;;#ASMSTART
	v_dot2_f32_f16 v7, v2, v10, v7
	;;#ASMEND
	;; [unrolled: 3-line block ×4, first 2 shown]
	s_waitcnt lgkmcnt(1)
	;;#ASMSTART
	v_dot2_f32_f16 v5, v1, v13, v5
	;;#ASMEND
	;;#ASMSTART
	v_dot2_f32_f16 v5, v2, v14, v5
	;;#ASMEND
	;; [unrolled: 3-line block ×4, first 2 shown]
	s_waitcnt lgkmcnt(0)
	;;#ASMSTART
	v_dot2_f32_f16 v8, v17, v9, v8
	;;#ASMEND
	v_cmp_ngt_f32_e64 s6, 0x3f200000, |v7|
	;;#ASMSTART
	v_dot2_f32_f16 v8, v18, v10, v8
	;;#ASMEND
	;;#ASMSTART
	v_dot2_f32_f16 v8, v19, v11, v8
	;;#ASMEND
	;; [unrolled: 3-line block ×7, first 2 shown]
                                        ; implicit-def: $vgpr9
	s_and_saveexec_b32 s7, s6
	s_xor_b32 s6, exec_lo, s7
	s_cbranch_execz .LBB26_15
; %bb.14:                               ;   in Loop: Header=BB26_13 Depth=1
	v_add_f32_e64 v1, |v7|, |v7|
	v_mul_f32_e32 v2, 0x3fb8aa3b, v1
	v_cmp_ngt_f32_e32 vcc_lo, 0xc2ce8ed0, v1
	v_rndne_f32_e32 v3, v2
	v_fma_f32 v4, 0x3fb8aa3b, v1, -v2
	v_sub_f32_e32 v2, v2, v3
	v_fmac_f32_e32 v4, 0x32a5705f, v1
	v_cvt_i32_f32_e32 v3, v3
	v_add_f32_e32 v2, v2, v4
	v_exp_f32_e32 v2, v2
	v_ldexp_f32 v2, v2, v3
	v_cndmask_b32_e32 v2, 0, v2, vcc_lo
	v_cmp_nlt_f32_e32 vcc_lo, 0x42b17218, v1
	v_cndmask_b32_e32 v1, 0x7f800000, v2, vcc_lo
	v_add_f32_e32 v1, 1.0, v1
	v_rcp_f32_e32 v1, v1
	v_fma_f32 v9, v1, -2.0, 1.0
.LBB26_15:                              ;   in Loop: Header=BB26_13 Depth=1
	s_andn2_saveexec_b32 s6, s6
	s_cbranch_execz .LBB26_17
; %bb.16:                               ;   in Loop: Header=BB26_13 Depth=1
	v_mul_f32_e32 v1, v7, v7
	v_fmaak_f32 v2, s12, v1, 0x3ca908c9
	v_fmaak_f32 v2, v1, v2, 0xbd5c1c4e
	;; [unrolled: 1-line block ×4, first 2 shown]
	v_mul_f32_e64 v2, |v7|, v2
	v_fma_f32 v9, v1, v2, |v7|
.LBB26_17:                              ;   in Loop: Header=BB26_13 Depth=1
	s_or_b32 exec_lo, exec_lo, s6
	v_add_nc_u32_e32 v1, s8, v82
	v_cmp_ngt_f32_e64 s6, 0x3f200000, |v8|
                                        ; implicit-def: $vgpr10
	v_ashrrev_i32_e32 v2, 31, v1
	v_lshlrev_b64 v[1:2], 1, v[1:2]
	v_add_co_u32 v1, vcc_lo, s34, v1
	v_add_co_ci_u32_e64 v2, null, s35, v2, vcc_lo
	global_load_ushort v3, v[1:2], off
	s_and_saveexec_b32 s7, s6
	s_xor_b32 s6, exec_lo, s7
	s_cbranch_execz .LBB26_19
; %bb.18:                               ;   in Loop: Header=BB26_13 Depth=1
	v_add_f32_e64 v4, |v8|, |v8|
	v_mul_f32_e32 v10, 0x3fb8aa3b, v4
	v_cmp_ngt_f32_e32 vcc_lo, 0xc2ce8ed0, v4
	v_rndne_f32_e32 v11, v10
	v_fma_f32 v12, 0x3fb8aa3b, v4, -v10
	v_sub_f32_e32 v10, v10, v11
	v_fmac_f32_e32 v12, 0x32a5705f, v4
	v_cvt_i32_f32_e32 v11, v11
	v_add_f32_e32 v10, v10, v12
	v_exp_f32_e32 v10, v10
	v_ldexp_f32 v10, v10, v11
	v_cndmask_b32_e32 v10, 0, v10, vcc_lo
	v_cmp_nlt_f32_e32 vcc_lo, 0x42b17218, v4
	v_cndmask_b32_e32 v4, 0x7f800000, v10, vcc_lo
	v_add_f32_e32 v4, 1.0, v4
	v_rcp_f32_e32 v4, v4
	v_fma_f32 v10, v4, -2.0, 1.0
.LBB26_19:                              ;   in Loop: Header=BB26_13 Depth=1
	s_andn2_saveexec_b32 s6, s6
	s_cbranch_execz .LBB26_21
; %bb.20:                               ;   in Loop: Header=BB26_13 Depth=1
	v_mul_f32_e32 v4, v8, v8
	v_fmaak_f32 v10, s12, v4, 0x3ca908c9
	v_fmaak_f32 v10, v4, v10, 0xbd5c1c4e
	v_fmaak_f32 v10, v4, v10, 0x3e088382
	v_fmaak_f32 v10, v4, v10, 0xbeaaaa99
	v_mul_f32_e64 v10, |v8|, v10
	v_fma_f32 v10, v4, v10, |v8|
.LBB26_21:                              ;   in Loop: Header=BB26_13 Depth=1
	s_or_b32 exec_lo, exec_lo, s6
	global_load_ushort v4, v[1:2], off offset:64
	v_bfi_b32 v1, 0x7fffffff, v9, v7
	v_bfi_b32 v7, 0x7fffffff, v10, v8
	v_xor_b32_e32 v129, 16, v94
	v_xor_b32_e32 v125, 8, v94
	;; [unrolled: 1-line block ×3, first 2 shown]
	s_waitcnt vmcnt(1)
	v_fma_mix_f32 v2, s10, v1, v3 op_sel_hi:[0,0,1]
	v_xor_b32_e32 v127, 2, v94
	v_cmp_gt_i32_e32 vcc_lo, 32, v129
	v_xor_b32_e32 v128, 1, v94
	v_cmp_ngt_f32_e64 s6, 0x3f200000, |v5|
	v_add_f32_e32 v8, 0x40051340, v2
	s_waitcnt vmcnt(0)
	v_fma_mix_f32 v1, s10, v7, v4 op_sel_hi:[0,0,1]
	v_cndmask_b32_e32 v7, v94, v129, vcc_lo
	v_cmp_gt_i32_e32 vcc_lo, 32, v125
	v_add_f32_e32 v9, 0x40051340, v1
	v_lshlrev_b32_e32 v7, 2, v7
	v_cndmask_b32_e32 v10, v94, v125, vcc_lo
	v_cmp_gt_i32_e32 vcc_lo, 32, v126
	v_max3_f32 v9, v89, v8, v9
	ds_bpermute_b32 v8, v7, v9
	s_waitcnt lgkmcnt(0)
	v_max_f32_e32 v11, v8, v8
	v_lshlrev_b32_e32 v8, 2, v10
	v_max_f32_e32 v10, v9, v11
	v_cndmask_b32_e32 v11, v94, v126, vcc_lo
	v_cmp_gt_i32_e32 vcc_lo, 32, v127
	ds_bpermute_b32 v9, v8, v10
	s_waitcnt lgkmcnt(0)
	v_max_f32_e32 v12, v9, v9
	v_lshlrev_b32_e32 v9, 2, v11
	v_max_f32_e32 v11, v10, v12
	v_cndmask_b32_e32 v12, v94, v127, vcc_lo
	v_cmp_gt_i32_e32 vcc_lo, 32, v128
	ds_bpermute_b32 v10, v9, v11
	s_waitcnt lgkmcnt(0)
	v_max_f32_e32 v13, v10, v10
	v_lshlrev_b32_e32 v10, 2, v12
	v_max_f32_e32 v11, v11, v13
	v_cndmask_b32_e32 v13, v94, v128, vcc_lo
	ds_bpermute_b32 v12, v10, v11
	s_waitcnt lgkmcnt(0)
	v_max_f32_e32 v14, v12, v12
	v_lshlrev_b32_e32 v12, 2, v13
	v_max_f32_e32 v11, v11, v14
                                        ; implicit-def: $vgpr14
	ds_bpermute_b32 v13, v12, v11
	s_and_saveexec_b32 s7, s6
	s_xor_b32 s6, exec_lo, s7
	s_cbranch_execz .LBB26_23
; %bb.22:                               ;   in Loop: Header=BB26_13 Depth=1
	v_add_f32_e64 v14, |v5|, |v5|
	v_mul_f32_e32 v15, 0x3fb8aa3b, v14
	v_cmp_ngt_f32_e32 vcc_lo, 0xc2ce8ed0, v14
	v_rndne_f32_e32 v16, v15
	v_fma_f32 v17, 0x3fb8aa3b, v14, -v15
	v_sub_f32_e32 v15, v15, v16
	v_fmac_f32_e32 v17, 0x32a5705f, v14
	v_cvt_i32_f32_e32 v16, v16
	v_add_f32_e32 v15, v15, v17
	v_exp_f32_e32 v15, v15
	v_ldexp_f32 v15, v15, v16
	v_cndmask_b32_e32 v15, 0, v15, vcc_lo
	v_cmp_nlt_f32_e32 vcc_lo, 0x42b17218, v14
	v_cndmask_b32_e32 v14, 0x7f800000, v15, vcc_lo
	v_add_f32_e32 v14, 1.0, v14
	v_rcp_f32_e32 v14, v14
	v_fma_f32 v14, v14, -2.0, 1.0
.LBB26_23:                              ;   in Loop: Header=BB26_13 Depth=1
	s_andn2_saveexec_b32 s6, s6
	s_cbranch_execz .LBB26_25
; %bb.24:                               ;   in Loop: Header=BB26_13 Depth=1
	v_mul_f32_e32 v14, v5, v5
	v_fmaak_f32 v15, s12, v14, 0x3ca908c9
	v_fmaak_f32 v15, v14, v15, 0xbd5c1c4e
	;; [unrolled: 1-line block ×4, first 2 shown]
	v_mul_f32_e64 v15, |v5|, v15
	v_fma_f32 v14, v14, v15, |v5|
.LBB26_25:                              ;   in Loop: Header=BB26_13 Depth=1
	s_or_b32 exec_lo, exec_lo, s6
	v_cmp_ngt_f32_e64 s6, 0x3f200000, |v6|
                                        ; implicit-def: $vgpr15
	s_and_saveexec_b32 s7, s6
	s_xor_b32 s6, exec_lo, s7
	s_cbranch_execz .LBB26_27
; %bb.26:                               ;   in Loop: Header=BB26_13 Depth=1
	v_add_f32_e64 v15, |v6|, |v6|
	v_mul_f32_e32 v16, 0x3fb8aa3b, v15
	v_cmp_ngt_f32_e32 vcc_lo, 0xc2ce8ed0, v15
	v_rndne_f32_e32 v17, v16
	v_fma_f32 v18, 0x3fb8aa3b, v15, -v16
	v_sub_f32_e32 v16, v16, v17
	v_fmac_f32_e32 v18, 0x32a5705f, v15
	v_cvt_i32_f32_e32 v17, v17
	v_add_f32_e32 v16, v16, v18
	v_exp_f32_e32 v16, v16
	v_ldexp_f32 v16, v16, v17
	v_cndmask_b32_e32 v16, 0, v16, vcc_lo
	v_cmp_nlt_f32_e32 vcc_lo, 0x42b17218, v15
	v_cndmask_b32_e32 v15, 0x7f800000, v16, vcc_lo
	v_add_f32_e32 v15, 1.0, v15
	v_rcp_f32_e32 v15, v15
	v_fma_f32 v15, v15, -2.0, 1.0
.LBB26_27:                              ;   in Loop: Header=BB26_13 Depth=1
	s_andn2_saveexec_b32 s6, s6
	s_cbranch_execz .LBB26_29
; %bb.28:                               ;   in Loop: Header=BB26_13 Depth=1
	v_mul_f32_e32 v15, v6, v6
	v_fmaak_f32 v16, s12, v15, 0x3ca908c9
	v_fmaak_f32 v16, v15, v16, 0xbd5c1c4e
	;; [unrolled: 1-line block ×4, first 2 shown]
	v_mul_f32_e64 v16, |v6|, v16
	v_fma_f32 v15, v15, v16, |v6|
.LBB26_29:                              ;   in Loop: Header=BB26_13 Depth=1
	s_or_b32 exec_lo, exec_lo, s6
	s_mul_hi_i32 s7, s8, s9
	s_mul_i32 s6, s8, s9
	s_waitcnt lgkmcnt(0)
	s_lshl_b64 s[6:7], s[6:7], 2
	s_barrier
	v_add_co_u32 v20, vcc_lo, v103, s6
	v_add_co_ci_u32_e64 v21, null, s7, v104, vcc_lo
	buffer_gl0_inv
	v_cvt_f32_f16_e32 v3, v3
	s_clause 0x1
	global_load_dwordx4 v[16:19], v[20:21], off
	global_load_dwordx4 v[20:23], v[20:21], off offset:512
	v_cvt_f32_f16_e32 v4, v4
	v_bfi_b32 v5, 0x7fffffff, v14, v5
	v_bfi_b32 v6, 0x7fffffff, v15, v6
	s_or_b32 s6, s8, 8
	v_add_nc_u32_e32 v130, 0x800, v102
	s_mul_hi_i32 s7, s6, s9
	v_fmac_f32_e32 v3, s10, v5
	v_fmac_f32_e32 v4, s10, v6
	s_mul_i32 s6, s6, s9
	v_add_nc_u32_e32 v131, 0x1000, v102
	s_lshl_b64 s[6:7], s[6:7], 2
	v_add_f32_e32 v5, 0x40051340, v3
	v_add_f32_e32 v6, 0x40051340, v4
	v_add_nc_u32_e32 v132, 0x1800, v102
	v_max3_f32 v5, v90, v5, v6
	ds_bpermute_b32 v6, v7, v5
	v_max_f32_e32 v7, v13, v13
	s_waitcnt lgkmcnt(0)
	v_max_f32_e32 v6, v6, v6
	v_max_f32_e32 v5, v5, v6
	ds_bpermute_b32 v6, v8, v5
	v_max_f32_e32 v8, v11, v11
	v_max_f32_e32 v87, v8, v7
	v_add_nc_u32_e32 v8, v99, v92
	v_sub_f32_e32 v2, v2, v87
	v_sub_f32_e32 v1, v1, v87
	;; [unrolled: 1-line block ×3, first 2 shown]
	v_mul_f32_e32 v7, 0x3fb8aa3b, v2
	v_cmp_ngt_f32_e32 vcc_lo, 0xc2ce8ed0, v2
	v_mul_f32_e32 v135, 0x3fb8aa3b, v89
	s_waitcnt lgkmcnt(0)
	v_max_f32_e32 v6, v6, v6
	v_fma_f32 v136, 0x3fb8aa3b, v89, -v135
	v_rndne_f32_e32 v139, v135
	v_max_f32_e32 v5, v5, v6
	v_fmac_f32_e32 v136, 0x32a5705f, v89
	v_sub_f32_e32 v135, v135, v139
	ds_bpermute_b32 v6, v9, v5
	v_mul_f32_e32 v9, 0x3fb8aa3b, v1
	v_cvt_i32_f32_e32 v139, v139
	v_add_f32_e32 v135, v135, v136
	v_rndne_f32_e32 v11, v9
	v_exp_f32_e32 v135, v135
	v_ldexp_f32 v135, v135, v139
	s_waitcnt lgkmcnt(0)
	v_max_f32_e32 v6, v6, v6
	v_max_f32_e32 v5, v5, v6
	ds_bpermute_b32 v6, v10, v5
	v_fma_f32 v10, 0x3fb8aa3b, v1, -v9
	v_sub_f32_e32 v9, v9, v11
	v_cvt_i32_f32_e32 v11, v11
	v_fmac_f32_e32 v10, 0x32a5705f, v1
	v_add_f32_e32 v9, v9, v10
	v_exp_f32_e32 v9, v9
	s_waitcnt lgkmcnt(0)
	v_max_f32_e32 v6, v6, v6
	v_max_f32_e32 v5, v5, v6
	ds_bpermute_b32 v6, v12, v5
	s_waitcnt lgkmcnt(0)
	v_max_f32_e32 v6, v6, v6
	v_max_f32_e32 v88, v5, v6
	v_fma_f32 v5, 0x3fb8aa3b, v2, -v7
	v_rndne_f32_e32 v6, v7
	v_sub_f32_e32 v3, v3, v88
	v_fmac_f32_e32 v5, 0x32a5705f, v2
	v_sub_f32_e32 v7, v7, v6
	v_sub_f32_e32 v4, v4, v88
	v_cvt_i32_f32_e32 v6, v6
	v_mul_f32_e32 v12, 0x3fb8aa3b, v3
	v_sub_f32_e32 v90, v90, v88
	v_add_f32_e32 v5, v7, v5
	v_mul_f32_e32 v13, 0x3fb8aa3b, v4
	v_fma_f32 v7, 0x3fb8aa3b, v3, -v12
	v_rndne_f32_e32 v14, v12
	v_exp_f32_e32 v5, v5
	v_fma_f32 v15, 0x3fb8aa3b, v4, -v13
	v_rndne_f32_e32 v24, v13
	v_fmac_f32_e32 v7, 0x32a5705f, v3
	v_sub_f32_e32 v10, v12, v14
	v_mul_f32_e32 v140, 0x3fb8aa3b, v90
	v_fmac_f32_e32 v15, 0x32a5705f, v4
	v_sub_f32_e32 v12, v13, v24
	v_add_f32_e32 v7, v10, v7
	v_ldexp_f32 v5, v5, v6
	v_ldexp_f32 v6, v9, v11
	v_add_f32_e32 v10, v12, v15
	v_cvt_i32_f32_e32 v9, v14
	v_exp_f32_e32 v7, v7
	v_cndmask_b32_e32 v5, 0, v5, vcc_lo
	v_cmp_ngt_f32_e32 vcc_lo, 0xc2ce8ed0, v1
	v_exp_f32_e32 v10, v10
	v_cvt_i32_f32_e32 v11, v24
	v_fma_f32 v141, 0x3fb8aa3b, v90, -v140
	v_rndne_f32_e32 v142, v140
	v_cndmask_b32_e32 v6, 0, v6, vcc_lo
	v_cmp_nlt_f32_e32 vcc_lo, 0x42b17218, v2
	v_ldexp_f32 v7, v7, v9
	v_fmac_f32_e32 v141, 0x32a5705f, v90
	v_sub_f32_e32 v136, v140, v142
	v_cndmask_b32_e32 v137, 0x7f800000, v5, vcc_lo
	v_cmp_ngt_f32_e32 vcc_lo, 0xc2ce8ed0, v3
	v_ldexp_f32 v9, v10, v11
	v_cvt_i32_f32_e32 v139, v142
	v_add_f32_e32 v136, v136, v141
	v_cndmask_b32_e32 v2, 0, v7, vcc_lo
	v_cmp_ngt_f32_e32 vcc_lo, 0xc2ce8ed0, v4
	v_exp_f32_e32 v136, v136
	v_cndmask_b32_e32 v5, 0, v9, vcc_lo
	v_cmp_nlt_f32_e32 vcc_lo, 0x42b17218, v1
	v_cvt_f16_f32_e32 v1, v137
	v_cndmask_b32_e32 v138, 0x7f800000, v6, vcc_lo
	v_cmp_nlt_f32_e32 vcc_lo, 0x42b17218, v3
	v_ldexp_f32 v139, v136, v139
	v_cndmask_b32_e32 v133, 0x7f800000, v2, vcc_lo
	v_cmp_nlt_f32_e32 vcc_lo, 0x42b17218, v4
	v_cvt_f16_f32_e32 v2, v138
	v_cvt_f16_f32_e32 v3, v133
	v_cndmask_b32_e32 v134, 0x7f800000, v5, vcc_lo
	v_add_co_u32 v41, vcc_lo, v103, s6
	v_add_co_ci_u32_e64 v42, null, s7, v104, vcc_lo
	v_cvt_f16_f32_e32 v4, v134
	v_pack_b32_f16 v1, v1, v3
	v_cmp_ngt_f32_e32 vcc_lo, 0xc2ce8ed0, v89
	s_or_b32 s6, s8, 16
	v_pack_b32_f16 v2, v2, v4
	s_mul_hi_i32 s7, s6, s9
	v_cndmask_b32_e32 v135, 0, v135, vcc_lo
	v_cmp_nlt_f32_e32 vcc_lo, 0x42b17218, v89
	s_mul_i32 s6, s6, s9
	ds_write2_b32 v8, v1, v2 offset1:32
	s_waitcnt vmcnt(1)
	ds_write_b128 v100, v[16:19]
	s_waitcnt vmcnt(0)
	ds_write_b128 v101, v[20:23]
	s_waitcnt lgkmcnt(0)
	s_barrier
	buffer_gl0_inv
	ds_read2_b64 v[69:72], v102 offset1:32
	ds_read2_b64 v[73:76], v102 offset0:64 offset1:96
	ds_read_b128 v[77:80], v99
	ds_read_b128 v[29:32], v99 offset:16
	ds_read2_b64 v[61:64], v102 offset0:128 offset1:160
	ds_read2_b64 v[65:68], v102 offset0:192 offset1:224
	ds_read2_b64 v[53:56], v130 offset1:32
	ds_read2_b64 v[57:60], v130 offset0:64 offset1:96
	ds_read2_b64 v[45:48], v130 offset0:128 offset1:160
	ds_read2_b64 v[49:52], v130 offset0:192 offset1:224
	ds_read2_b64 v[25:28], v131 offset1:32
	ds_read2_b64 v[33:36], v131 offset0:64 offset1:96
	;; [unrolled: 4-line block ×3, first 2 shown]
	ds_read2_b64 v[1:4], v132 offset0:128 offset1:160
	ds_read2_b64 v[5:8], v132 offset0:192 offset1:224
	s_waitcnt lgkmcnt(0)
	s_barrier
	buffer_gl0_inv
	s_clause 0x1
	global_load_dwordx4 v[37:40], v[41:42], off
	global_load_dwordx4 v[41:44], v[41:42], off offset:512
	v_cndmask_b32_e32 v136, 0x7f800000, v135, vcc_lo
	v_cmp_ngt_f32_e32 vcc_lo, 0xc2ce8ed0, v90
	v_mul_u32_u24_sdwa v141, v77, v106 dst_sel:DWORD dst_unused:UNUSED_PAD src0_sel:WORD_0 src1_sel:DWORD
	v_mul_u32_u24_sdwa v77, v77, v106 dst_sel:DWORD dst_unused:UNUSED_PAD src0_sel:WORD_1 src1_sel:DWORD
	v_mul_u32_u24_sdwa v142, v78, v106 dst_sel:DWORD dst_unused:UNUSED_PAD src0_sel:WORD_0 src1_sel:DWORD
	v_cvt_f16_f32_e32 v89, v136
	v_cndmask_b32_e32 v135, 0, v139, vcc_lo
	v_cmp_nlt_f32_e32 vcc_lo, 0x42b17218, v90
	v_mul_u32_u24_sdwa v78, v78, v106 dst_sel:DWORD dst_unused:UNUSED_PAD src0_sel:WORD_1 src1_sel:DWORD
	v_mul_u32_u24_sdwa v143, v79, v106 dst_sel:DWORD dst_unused:UNUSED_PAD src0_sel:WORD_0 src1_sel:DWORD
	v_mul_u32_u24_sdwa v139, v89, v106 dst_sel:DWORD dst_unused:UNUSED_PAD src0_sel:WORD_0 src1_sel:DWORD
	v_mul_u32_u24_sdwa v79, v79, v106 dst_sel:DWORD dst_unused:UNUSED_PAD src0_sel:WORD_1 src1_sel:DWORD
	v_cndmask_b32_e32 v135, 0x7f800000, v135, vcc_lo
	s_lshl_b64 s[6:7], s[6:7], 2
	v_mul_u32_u24_sdwa v144, v80, v106 dst_sel:DWORD dst_unused:UNUSED_PAD src0_sel:WORD_0 src1_sel:DWORD
	v_pk_mul_f16 v120, v120, v139
	v_pk_mul_f16 v121, v121, v139
	v_cvt_f16_f32_e32 v140, v135
	v_pk_mul_f16 v124, v124, v139
	v_pk_mul_f16 v122, v122, v139
	;; [unrolled: 1-line block ×4, first 2 shown]
	v_mul_u32_u24_sdwa v140, v140, v106 dst_sel:DWORD dst_unused:UNUSED_PAD src0_sel:WORD_0 src1_sel:DWORD
	v_pk_mul_f16 v118, v118, v139
	v_pk_fma_f16 v120, v73, v141, v120
	v_add_co_u32 v89, vcc_lo, v103, s6
	v_pk_mul_f16 v111, v111, v140
	v_pk_mul_f16 v116, v116, v140
	;; [unrolled: 1-line block ×7, first 2 shown]
	v_pk_fma_f16 v73, v73, v77, v111
	v_pk_fma_f16 v111, v74, v141, v121
	v_pk_mul_f16 v121, v69, v141
	v_pk_mul_f16 v69, v69, v77
	v_pk_fma_f16 v74, v74, v77, v112
	v_pk_fma_f16 v112, v75, v141, v117
	;; [unrolled: 1-line block ×29, first 2 shown]
	v_add_co_ci_u32_e64 v90, null, s7, v104, vcc_lo
	v_mul_u32_u24_sdwa v80, v80, v106 dst_sel:DWORD dst_unused:UNUSED_PAD src0_sel:WORD_1 src1_sel:DWORD
	v_pk_fma_f16 v69, v54, v143, v109
	v_pk_fma_f16 v54, v54, v79, v62
	;; [unrolled: 1-line block ×32, first 2 shown]
	v_mul_u32_u24_sdwa v175, v29, v106 dst_sel:DWORD dst_unused:UNUSED_PAD src0_sel:WORD_0 src1_sel:DWORD
	v_mul_u32_u24_sdwa v29, v29, v106 dst_sel:DWORD dst_unused:UNUSED_PAD src0_sel:WORD_1 src1_sel:DWORD
	v_mul_u32_u24_sdwa v176, v30, v106 dst_sel:DWORD dst_unused:UNUSED_PAD src0_sel:WORD_0 src1_sel:DWORD
	v_mul_u32_u24_sdwa v30, v30, v106 dst_sel:DWORD dst_unused:UNUSED_PAD src0_sel:WORD_1 src1_sel:DWORD
	s_or_b32 s6, s8, 24
	v_pk_fma_f16 v165, v33, v175, v165
	v_pk_fma_f16 v33, v33, v29, v166
	;; [unrolled: 1-line block ×16, first 2 shown]
	v_mul_u32_u24_sdwa v169, v31, v106 dst_sel:DWORD dst_unused:UNUSED_PAD src0_sel:WORD_0 src1_sel:DWORD
	v_mul_u32_u24_sdwa v31, v31, v106 dst_sel:DWORD dst_unused:UNUSED_PAD src0_sel:WORD_1 src1_sel:DWORD
	v_pk_fma_f16 v29, v18, v176, v159
	v_pk_fma_f16 v18, v18, v30, v26
	;; [unrolled: 1-line block ×16, first 2 shown]
	v_mul_u32_u24_sdwa v170, v32, v106 dst_sel:DWORD dst_unused:UNUSED_PAD src0_sel:WORD_0 src1_sel:DWORD
	v_mul_u32_u24_sdwa v32, v32, v106 dst_sel:DWORD dst_unused:UNUSED_PAD src0_sel:WORD_1 src1_sel:DWORD
	v_pk_fma_f16 v25, v13, v169, v28
	v_pk_fma_f16 v13, v13, v31, v21
	;; [unrolled: 1-line block ×32, first 2 shown]
	s_mul_hi_i32 s7, s6, s9
	s_mul_i32 s6, s6, s9
	s_waitcnt vmcnt(1)
	ds_write_b128 v100, v[37:40]
	s_waitcnt vmcnt(0)
	ds_write_b128 v101, v[41:44]
	s_waitcnt lgkmcnt(0)
	s_barrier
	buffer_gl0_inv
	ds_read2_b64 v[37:40], v102 offset1:32
	ds_read2_b64 v[41:44], v102 offset0:64 offset1:96
	ds_read_b128 v[45:48], v99 offset:32
	ds_read_b128 v[49:52], v99 offset:48
	ds_read2_b64 v[53:56], v102 offset0:128 offset1:160
	ds_read2_b64 v[57:60], v102 offset0:192 offset1:224
	ds_read2_b64 v[61:64], v130 offset1:32
	ds_read2_b64 v[65:68], v130 offset0:64 offset1:96
	ds_read2_b64 v[69:72], v130 offset0:128 offset1:160
	ds_read2_b64 v[73:76], v130 offset0:192 offset1:224
	ds_read2_b64 v[77:80], v131 offset1:32
	ds_read2_b64 v[109:112], v131 offset0:64 offset1:96
	;; [unrolled: 4-line block ×3, first 2 shown]
	ds_read2_b64 v[143:146], v132 offset0:128 offset1:160
	ds_read2_b64 v[147:150], v132 offset0:192 offset1:224
	s_waitcnt lgkmcnt(0)
	s_barrier
	buffer_gl0_inv
	s_clause 0x1
	global_load_dwordx4 v[151:154], v[89:90], off
	global_load_dwordx4 v[155:158], v[89:90], off offset:512
	v_mul_u32_u24_sdwa v9, v45, v106 dst_sel:DWORD dst_unused:UNUSED_PAD src0_sel:WORD_0 src1_sel:DWORD
	v_mul_u32_u24_sdwa v18, v45, v106 dst_sel:DWORD dst_unused:UNUSED_PAD src0_sel:WORD_1 src1_sel:DWORD
	v_mul_u32_u24_sdwa v19, v46, v106 dst_sel:DWORD dst_unused:UNUSED_PAD src0_sel:WORD_0 src1_sel:DWORD
	v_mul_u32_u24_sdwa v20, v46, v106 dst_sel:DWORD dst_unused:UNUSED_PAD src0_sel:WORD_1 src1_sel:DWORD
	v_mul_u32_u24_sdwa v21, v47, v106 dst_sel:DWORD dst_unused:UNUSED_PAD src0_sel:WORD_0 src1_sel:DWORD
	v_pk_fma_f16 v12, v37, v9, v12
	v_pk_fma_f16 v1, v37, v18, v1
	;; [unrolled: 1-line block ×16, first 2 shown]
	v_mul_u32_u24_sdwa v22, v47, v106 dst_sel:DWORD dst_unused:UNUSED_PAD src0_sel:WORD_1 src1_sel:DWORD
	v_pk_fma_f16 v12, v53, v19, v12
	v_pk_fma_f16 v1, v53, v20, v1
	;; [unrolled: 1-line block ×16, first 2 shown]
	s_lshl_b64 s[6:7], s[6:7], 2
	v_mul_u32_u24_sdwa v23, v48, v106 dst_sel:DWORD dst_unused:UNUSED_PAD src0_sel:WORD_0 src1_sel:DWORD
	v_add_co_u32 v89, vcc_lo, v103, s6
	v_add_co_ci_u32_e64 v90, null, s7, v104, vcc_lo
	v_mul_u32_u24_sdwa v24, v48, v106 dst_sel:DWORD dst_unused:UNUSED_PAD src0_sel:WORD_1 src1_sel:DWORD
	v_pk_fma_f16 v12, v61, v21, v12
	v_pk_fma_f16 v1, v61, v22, v1
	;; [unrolled: 1-line block ×32, first 2 shown]
	s_or_b32 s6, s8, 32
	s_waitcnt vmcnt(1)
	ds_write_b128 v100, v[151:154]
	s_waitcnt vmcnt(0)
	ds_write_b128 v101, v[155:158]
	s_waitcnt lgkmcnt(0)
	s_barrier
	buffer_gl0_inv
	ds_read2_b64 v[1:4], v102 offset1:32
	ds_read2_b64 v[5:8], v102 offset0:64 offset1:96
	ds_read_b128 v[9:12], v99 offset:64
	ds_read_b128 v[13:16], v99 offset:80
	ds_read2_b64 v[17:20], v102 offset0:128 offset1:160
	ds_read2_b64 v[21:24], v102 offset0:192 offset1:224
	ds_read2_b64 v[25:28], v130 offset1:32
	ds_read2_b64 v[29:32], v130 offset0:64 offset1:96
	ds_read2_b64 v[33:36], v130 offset0:128 offset1:160
	ds_read2_b64 v[37:40], v130 offset0:192 offset1:224
	ds_read2_b64 v[41:44], v131 offset1:32
	ds_read2_b64 v[45:48], v131 offset0:64 offset1:96
	;; [unrolled: 4-line block ×3, first 2 shown]
	ds_read2_b64 v[69:72], v132 offset0:128 offset1:160
	ds_read2_b64 v[73:76], v132 offset0:192 offset1:224
	s_waitcnt lgkmcnt(0)
	s_barrier
	buffer_gl0_inv
	s_clause 0x1
	global_load_dwordx4 v[151:154], v[89:90], off
	global_load_dwordx4 v[155:158], v[89:90], off offset:512
	v_mul_u32_u24_sdwa v89, v49, v106 dst_sel:DWORD dst_unused:UNUSED_PAD src0_sel:WORD_0 src1_sel:DWORD
	v_mul_u32_u24_sdwa v49, v49, v106 dst_sel:DWORD dst_unused:UNUSED_PAD src0_sel:WORD_1 src1_sel:DWORD
	v_mul_u32_u24_sdwa v90, v50, v106 dst_sel:DWORD dst_unused:UNUSED_PAD src0_sel:WORD_0 src1_sel:DWORD
	v_mul_u32_u24_sdwa v50, v50, v106 dst_sel:DWORD dst_unused:UNUSED_PAD src0_sel:WORD_1 src1_sel:DWORD
	s_mul_hi_i32 s7, s6, s9
	v_pk_fma_f16 v159, v77, v89, v159
	v_pk_fma_f16 v160, v77, v49, v160
	v_pk_fma_f16 v161, v78, v89, v161
	v_pk_fma_f16 v162, v78, v49, v162
	v_pk_fma_f16 v163, v79, v89, v163
	v_pk_fma_f16 v79, v79, v49, v164
	v_pk_fma_f16 v164, v80, v89, v165
	v_pk_fma_f16 v80, v80, v49, v166
	v_pk_fma_f16 v167, v109, v89, v167
	v_pk_fma_f16 v109, v109, v49, v168
	v_pk_fma_f16 v168, v110, v89, v169
	v_pk_fma_f16 v110, v110, v49, v170
	v_pk_fma_f16 v169, v111, v89, v171
	v_pk_fma_f16 v111, v111, v49, v172
	v_pk_fma_f16 v89, v112, v89, v173
	v_pk_fma_f16 v49, v112, v49, v174
	v_mul_u32_u24_sdwa v165, v51, v106 dst_sel:DWORD dst_unused:UNUSED_PAD src0_sel:WORD_0 src1_sel:DWORD
	v_mul_u32_u24_sdwa v51, v51, v106 dst_sel:DWORD dst_unused:UNUSED_PAD src0_sel:WORD_1 src1_sel:DWORD
	v_pk_fma_f16 v112, v113, v90, v159
	v_pk_fma_f16 v113, v113, v50, v160
	v_pk_fma_f16 v159, v114, v90, v161
	v_pk_fma_f16 v114, v114, v50, v162
	v_pk_fma_f16 v160, v115, v90, v163
	v_pk_fma_f16 v79, v115, v50, v79
	v_pk_fma_f16 v115, v116, v90, v164
	v_pk_fma_f16 v80, v116, v50, v80
	v_pk_fma_f16 v116, v117, v90, v167
	v_pk_fma_f16 v109, v117, v50, v109
	v_pk_fma_f16 v117, v118, v90, v168
	v_pk_fma_f16 v110, v118, v50, v110
	v_pk_fma_f16 v118, v119, v90, v169
	v_pk_fma_f16 v111, v119, v50, v111
	v_pk_fma_f16 v89, v120, v90, v89
	v_pk_fma_f16 v49, v120, v50, v49
	v_mul_u32_u24_sdwa v166, v52, v106 dst_sel:DWORD dst_unused:UNUSED_PAD src0_sel:WORD_0 src1_sel:DWORD
	v_mul_u32_u24_sdwa v52, v52, v106 dst_sel:DWORD dst_unused:UNUSED_PAD src0_sel:WORD_1 src1_sel:DWORD
	v_pk_fma_f16 v50, v121, v165, v112
	v_pk_fma_f16 v90, v121, v51, v113
	v_pk_fma_f16 v112, v122, v165, v159
	v_pk_fma_f16 v113, v122, v51, v114
	v_pk_fma_f16 v114, v123, v165, v160
	v_pk_fma_f16 v79, v123, v51, v79
	v_pk_fma_f16 v115, v124, v165, v115
	v_pk_fma_f16 v80, v124, v51, v80
	v_pk_fma_f16 v116, v139, v165, v116
	v_pk_fma_f16 v109, v139, v51, v109
	v_pk_fma_f16 v117, v140, v165, v117
	v_pk_fma_f16 v110, v140, v51, v110
	v_pk_fma_f16 v118, v141, v165, v118
	v_pk_fma_f16 v111, v141, v51, v111
	v_pk_fma_f16 v89, v142, v165, v89
	v_pk_fma_f16 v49, v142, v51, v49
	v_pk_fma_f16 v50, v143, v166, v50
	v_pk_fma_f16 v51, v143, v52, v90
	v_pk_fma_f16 v90, v144, v166, v112
	v_pk_fma_f16 v112, v144, v52, v113
	v_pk_fma_f16 v113, v145, v166, v114
	v_pk_fma_f16 v79, v145, v52, v79
	v_pk_fma_f16 v114, v146, v166, v115
	v_pk_fma_f16 v80, v146, v52, v80
	v_pk_fma_f16 v115, v147, v166, v116
	v_pk_fma_f16 v109, v147, v52, v109
	v_pk_fma_f16 v116, v148, v166, v117
	v_pk_fma_f16 v110, v148, v52, v110
	v_pk_fma_f16 v117, v149, v166, v118
	v_pk_fma_f16 v111, v149, v52, v111
	v_pk_fma_f16 v89, v150, v166, v89
	v_pk_fma_f16 v49, v150, v52, v49
	v_mul_u32_u24_sdwa v52, v9, v106 dst_sel:DWORD dst_unused:UNUSED_PAD src0_sel:WORD_0 src1_sel:DWORD
	v_mul_u32_u24_sdwa v9, v9, v106 dst_sel:DWORD dst_unused:UNUSED_PAD src0_sel:WORD_1 src1_sel:DWORD
	v_mul_u32_u24_sdwa v118, v10, v106 dst_sel:DWORD dst_unused:UNUSED_PAD src0_sel:WORD_0 src1_sel:DWORD
	v_mul_u32_u24_sdwa v10, v10, v106 dst_sel:DWORD dst_unused:UNUSED_PAD src0_sel:WORD_1 src1_sel:DWORD
	s_mul_i32 s6, s6, s9
	v_pk_fma_f16 v50, v1, v52, v50
	v_pk_fma_f16 v1, v1, v9, v51
	;; [unrolled: 1-line block ×16, first 2 shown]
	v_mul_u32_u24_sdwa v119, v11, v106 dst_sel:DWORD dst_unused:UNUSED_PAD src0_sel:WORD_0 src1_sel:DWORD
	v_mul_u32_u24_sdwa v11, v11, v106 dst_sel:DWORD dst_unused:UNUSED_PAD src0_sel:WORD_1 src1_sel:DWORD
	v_pk_fma_f16 v9, v17, v118, v50
	v_pk_fma_f16 v1, v17, v10, v1
	;; [unrolled: 1-line block ×16, first 2 shown]
	s_lshl_b64 s[6:7], s[6:7], 2
	v_mul_u32_u24_sdwa v120, v12, v106 dst_sel:DWORD dst_unused:UNUSED_PAD src0_sel:WORD_0 src1_sel:DWORD
	v_add_co_u32 v77, vcc_lo, v103, s6
	v_add_co_ci_u32_e64 v78, null, s7, v104, vcc_lo
	v_mul_u32_u24_sdwa v12, v12, v106 dst_sel:DWORD dst_unused:UNUSED_PAD src0_sel:WORD_1 src1_sel:DWORD
	v_pk_fma_f16 v9, v25, v119, v9
	v_pk_fma_f16 v1, v25, v11, v1
	;; [unrolled: 1-line block ×32, first 2 shown]
	v_mul_u32_u24_sdwa v175, v13, v106 dst_sel:DWORD dst_unused:UNUSED_PAD src0_sel:WORD_0 src1_sel:DWORD
	v_mul_u32_u24_sdwa v13, v13, v106 dst_sel:DWORD dst_unused:UNUSED_PAD src0_sel:WORD_1 src1_sel:DWORD
	v_mul_u32_u24_sdwa v176, v14, v106 dst_sel:DWORD dst_unused:UNUSED_PAD src0_sel:WORD_0 src1_sel:DWORD
	v_mul_u32_u24_sdwa v14, v14, v106 dst_sel:DWORD dst_unused:UNUSED_PAD src0_sel:WORD_1 src1_sel:DWORD
	s_or_b32 s6, s8, 40
	v_pk_fma_f16 v177, v41, v175, v79
	v_pk_fma_f16 v41, v41, v13, v80
	;; [unrolled: 1-line block ×11, first 2 shown]
	v_mul_u32_u24_sdwa v163, v15, v106 dst_sel:DWORD dst_unused:UNUSED_PAD src0_sel:WORD_0 src1_sel:DWORD
	v_mul_u32_u24_sdwa v15, v15, v106 dst_sel:DWORD dst_unused:UNUSED_PAD src0_sel:WORD_1 src1_sel:DWORD
	v_pk_fma_f16 v41, v53, v14, v41
	v_pk_fma_f16 v42, v54, v14, v42
	;; [unrolled: 1-line block ×5, first 2 shown]
	v_mul_u32_u24_sdwa v164, v16, v106 dst_sel:DWORD dst_unused:UNUSED_PAD src0_sel:WORD_0 src1_sel:DWORD
	v_mul_u32_u24_sdwa v16, v16, v106 dst_sel:DWORD dst_unused:UNUSED_PAD src0_sel:WORD_1 src1_sel:DWORD
	v_pk_fma_f16 v41, v61, v15, v41
	v_pk_fma_f16 v42, v62, v15, v42
	;; [unrolled: 1-line block ×5, first 2 shown]
	s_mul_hi_i32 s7, s6, s9
	v_pk_fma_f16 v42, v70, v16, v42
	v_pk_fma_f16 v43, v71, v16, v43
	;; [unrolled: 1-line block ×4, first 2 shown]
	s_mul_i32 s6, s6, s9
	s_waitcnt vmcnt(1)
	ds_write_b128 v100, v[151:154]
	s_waitcnt vmcnt(0)
	ds_write_b128 v101, v[155:158]
	s_waitcnt lgkmcnt(0)
	s_barrier
	buffer_gl0_inv
	ds_read2_b64 v[1:4], v102 offset1:32
	ds_read2_b64 v[5:8], v102 offset0:64 offset1:96
	ds_read_b128 v[9:12], v99 offset:96
	ds_read_b128 v[17:20], v99 offset:112
	ds_read2_b64 v[21:24], v102 offset0:128 offset1:160
	ds_read2_b64 v[25:28], v102 offset0:192 offset1:224
	ds_read2_b64 v[29:32], v130 offset1:32
	ds_read2_b64 v[33:36], v130 offset0:64 offset1:96
	ds_read2_b64 v[37:40], v130 offset0:128 offset1:160
	ds_read2_b64 v[49:52], v130 offset0:192 offset1:224
	ds_read2_b64 v[109:112], v131 offset1:32
	ds_read2_b64 v[113:116], v131 offset0:64 offset1:96
	;; [unrolled: 4-line block ×3, first 2 shown]
	ds_read2_b64 v[147:150], v132 offset0:128 offset1:160
	ds_read2_b64 v[151:154], v132 offset0:192 offset1:224
	s_waitcnt lgkmcnt(0)
	s_barrier
	buffer_gl0_inv
	s_clause 0x1
	global_load_dwordx4 v[155:158], v[77:78], off
	global_load_dwordx4 v[159:162], v[77:78], off offset:512
	v_add_f32_e32 v77, v137, v138
	v_pk_fma_f16 v137, v45, v175, v167
	v_pk_fma_f16 v45, v45, v13, v168
	;; [unrolled: 1-line block ×39, first 2 shown]
	v_mul_u32_u24_sdwa v16, v9, v106 dst_sel:DWORD dst_unused:UNUSED_PAD src0_sel:WORD_0 src1_sel:DWORD
	v_mul_u32_u24_sdwa v9, v9, v106 dst_sel:DWORD dst_unused:UNUSED_PAD src0_sel:WORD_1 src1_sel:DWORD
	v_mul_u32_u24_sdwa v58, v10, v106 dst_sel:DWORD dst_unused:UNUSED_PAD src0_sel:WORD_0 src1_sel:DWORD
	v_mul_u32_u24_sdwa v10, v10, v106 dst_sel:DWORD dst_unused:UNUSED_PAD src0_sel:WORD_1 src1_sel:DWORD
	;; [unrolled: 2-line block ×6, first 2 shown]
	v_pk_fma_f16 v14, v1, v16, v14
	v_pk_fma_f16 v1, v1, v9, v15
	;; [unrolled: 1-line block ×16, first 2 shown]
	v_mul_u32_u24_sdwa v59, v11, v106 dst_sel:DWORD dst_unused:UNUSED_PAD src0_sel:WORD_0 src1_sel:DWORD
	v_mul_u32_u24_sdwa v11, v11, v106 dst_sel:DWORD dst_unused:UNUSED_PAD src0_sel:WORD_1 src1_sel:DWORD
	v_pk_fma_f16 v9, v21, v58, v14
	v_pk_fma_f16 v1, v21, v10, v1
	;; [unrolled: 1-line block ×16, first 2 shown]
	s_lshl_b64 s[6:7], s[6:7], 2
	v_mul_u32_u24_sdwa v60, v12, v106 dst_sel:DWORD dst_unused:UNUSED_PAD src0_sel:WORD_0 src1_sel:DWORD
	v_add_co_u32 v78, vcc_lo, v103, s6
	v_add_co_ci_u32_e64 v79, null, s7, v104, vcc_lo
	v_mul_u32_u24_sdwa v12, v12, v106 dst_sel:DWORD dst_unused:UNUSED_PAD src0_sel:WORD_1 src1_sel:DWORD
	v_pk_fma_f16 v9, v29, v59, v9
	v_pk_fma_f16 v1, v29, v11, v1
	v_pk_fma_f16 v10, v30, v59, v13
	v_pk_fma_f16 v2, v30, v11, v2
	v_pk_fma_f16 v13, v31, v59, v14
	v_pk_fma_f16 v3, v31, v11, v3
	v_pk_fma_f16 v14, v32, v59, v15
	v_pk_fma_f16 v4, v32, v11, v4
	v_pk_fma_f16 v15, v33, v59, v17
	v_pk_fma_f16 v5, v33, v11, v5
	v_pk_fma_f16 v17, v34, v59, v18
	v_pk_fma_f16 v6, v34, v11, v6
	v_pk_fma_f16 v18, v35, v59, v19
	v_pk_fma_f16 v7, v35, v11, v7
	v_pk_fma_f16 v16, v36, v59, v16
	v_pk_fma_f16 v8, v36, v11, v8
	v_pk_fma_f16 v166, v37, v60, v9
	v_pk_fma_f16 v167, v37, v12, v1
	v_pk_fma_f16 v168, v38, v60, v10
	v_pk_fma_f16 v169, v38, v12, v2
	v_pk_fma_f16 v170, v39, v60, v13
	v_pk_fma_f16 v171, v39, v12, v3
	v_pk_fma_f16 v172, v40, v60, v14
	v_pk_fma_f16 v173, v40, v12, v4
	v_pk_fma_f16 v174, v49, v60, v15
	v_pk_fma_f16 v175, v49, v12, v5
	v_pk_fma_f16 v176, v50, v60, v17
	v_pk_fma_f16 v177, v50, v12, v6
	v_pk_fma_f16 v178, v51, v60, v18
	v_pk_fma_f16 v179, v51, v12, v7
	v_pk_fma_f16 v180, v52, v60, v16
	v_pk_fma_f16 v181, v52, v12, v8
	v_fmac_f32_e32 v77, v108, v136
	v_pk_fma_f16 v108, v109, v80, v166
	v_pk_fma_f16 v109, v109, v89, v167
	;; [unrolled: 1-line block ×9, first 2 shown]
	s_or_b32 s6, s8, 48
	v_pk_fma_f16 v115, v123, v137, v115
	s_mul_hi_i32 s7, s6, s9
	s_mul_i32 s6, s6, s9
	v_pk_fma_f16 v110, v140, v163, v110
	s_lshl_b64 s[6:7], s[6:7], 2
	v_pk_fma_f16 v115, v145, v163, v115
	s_waitcnt vmcnt(1)
	ds_write_b128 v100, v[155:158]
	s_waitcnt vmcnt(0)
	ds_write_b128 v101, v[159:162]
	s_waitcnt lgkmcnt(0)
	s_barrier
	buffer_gl0_inv
	ds_read2_b64 v[29:32], v102 offset1:32
	ds_read2_b64 v[41:44], v102 offset0:64 offset1:96
	ds_read_b128 v[45:48], v99 offset:128
	ds_read_b128 v[37:40], v99 offset:144
	ds_read2_b64 v[53:56], v102 offset0:128 offset1:160
	ds_read2_b64 v[57:60], v102 offset0:192 offset1:224
	ds_read2_b64 v[61:64], v130 offset1:32
	ds_read2_b64 v[65:68], v130 offset0:64 offset1:96
	ds_read2_b64 v[69:72], v130 offset0:128 offset1:160
	ds_read2_b64 v[49:52], v130 offset0:192 offset1:224
	ds_read2_b64 v[33:36], v131 offset1:32
	ds_read2_b64 v[25:28], v131 offset0:64 offset1:96
	;; [unrolled: 4-line block ×3, first 2 shown]
	ds_read2_b64 v[5:8], v132 offset0:128 offset1:160
	ds_read2_b64 v[1:4], v132 offset0:192 offset1:224
	s_waitcnt lgkmcnt(0)
	s_barrier
	buffer_gl0_inv
	s_clause 0x1
	global_load_dwordx4 v[73:76], v[78:79], off
	global_load_dwordx4 v[155:158], v[78:79], off offset:512
	v_pk_fma_f16 v159, v111, v80, v170
	v_pk_fma_f16 v111, v111, v89, v171
	;; [unrolled: 1-line block ×44, first 2 shown]
	v_mul_u32_u24_sdwa v121, v45, v106 dst_sel:DWORD dst_unused:UNUSED_PAD src0_sel:WORD_0 src1_sel:DWORD
	v_mul_u32_u24_sdwa v45, v45, v106 dst_sel:DWORD dst_unused:UNUSED_PAD src0_sel:WORD_1 src1_sel:DWORD
	v_pk_fma_f16 v118, v151, v164, v118
	v_pk_fma_f16 v113, v151, v165, v113
	v_pk_fma_f16 v119, v152, v164, v119
	v_pk_fma_f16 v114, v152, v165, v114
	v_pk_fma_f16 v120, v153, v164, v120
	v_pk_fma_f16 v115, v153, v165, v115
	v_pk_fma_f16 v80, v154, v164, v80
	v_pk_fma_f16 v89, v154, v165, v89
	v_mul_u32_u24_sdwa v122, v46, v106 dst_sel:DWORD dst_unused:UNUSED_PAD src0_sel:WORD_0 src1_sel:DWORD
	v_mul_u32_u24_sdwa v46, v46, v106 dst_sel:DWORD dst_unused:UNUSED_PAD src0_sel:WORD_1 src1_sel:DWORD
	v_mul_u32_u24_sdwa v124, v48, v106 dst_sel:DWORD dst_unused:UNUSED_PAD src0_sel:WORD_0 src1_sel:DWORD
	v_mul_u32_u24_sdwa v164, v48, v106 dst_sel:DWORD dst_unused:UNUSED_PAD src0_sel:WORD_1 src1_sel:DWORD
	v_pk_fma_f16 v48, v29, v121, v90
	v_pk_fma_f16 v29, v29, v45, v108
	;; [unrolled: 1-line block ×8, first 2 shown]
	v_mul_u32_u24_sdwa v123, v47, v106 dst_sel:DWORD dst_unused:UNUSED_PAD src0_sel:WORD_0 src1_sel:DWORD
	v_mul_u32_u24_sdwa v47, v47, v106 dst_sel:DWORD dst_unused:UNUSED_PAD src0_sel:WORD_1 src1_sel:DWORD
	v_pk_fma_f16 v110, v41, v121, v118
	v_pk_fma_f16 v41, v41, v45, v113
	;; [unrolled: 1-line block ×16, first 2 shown]
	v_add_co_u32 v78, vcc_lo, v103, s6
	v_add_co_ci_u32_e64 v79, null, s7, v104, vcc_lo
	v_pk_fma_f16 v55, v57, v122, v110
	v_pk_fma_f16 v41, v57, v46, v41
	;; [unrolled: 1-line block ×34, first 2 shown]
	v_mul_u32_u24_sdwa v90, v38, v106 dst_sel:DWORD dst_unused:UNUSED_PAD src0_sel:WORD_0 src1_sel:DWORD
	v_mul_u32_u24_sdwa v38, v38, v106 dst_sel:DWORD dst_unused:UNUSED_PAD src0_sel:WORD_1 src1_sel:DWORD
	s_or_b32 s6, s8, 56
	s_waitcnt vmcnt(1)
	ds_write_b128 v100, v[73:76]
	s_waitcnt vmcnt(0)
	ds_write_b128 v101, v[155:158]
	s_waitcnt lgkmcnt(0)
	s_barrier
	buffer_gl0_inv
	ds_read2_b64 v[108:111], v102 offset1:32
	ds_read2_b64 v[112:115], v102 offset0:64 offset1:96
	ds_read_b128 v[116:119], v99 offset:160
	ds_read_b128 v[120:123], v99 offset:176
	ds_read2_b64 v[136:139], v102 offset0:128 offset1:160
	ds_read2_b64 v[140:143], v102 offset0:192 offset1:224
	ds_read2_b64 v[144:147], v130 offset1:32
	ds_read2_b64 v[148:151], v130 offset0:64 offset1:96
	ds_read2_b64 v[152:155], v130 offset0:128 offset1:160
	ds_read2_b64 v[73:76], v130 offset0:192 offset1:224
	ds_read2_b64 v[69:72], v131 offset1:32
	ds_read2_b64 v[65:68], v131 offset0:64 offset1:96
	;; [unrolled: 4-line block ×3, first 2 shown]
	ds_read2_b64 v[41:44], v132 offset0:128 offset1:160
	ds_read2_b64 v[29:32], v132 offset0:192 offset1:224
	s_waitcnt lgkmcnt(0)
	s_barrier
	buffer_gl0_inv
	s_clause 0x1
	global_load_dwordx4 v[156:159], v[78:79], off
	global_load_dwordx4 v[160:163], v[78:79], off offset:512
	v_add_f32_e32 v78, v133, v134
	v_pk_fma_f16 v133, v50, v124, v165
	v_pk_fma_f16 v134, v51, v124, v167
	;; [unrolled: 1-line block ×4, first 2 shown]
	v_fmac_f32_e32 v78, v107, v135
	v_mul_u32_u24_sdwa v107, v37, v106 dst_sel:DWORD dst_unused:UNUSED_PAD src0_sel:WORD_0 src1_sel:DWORD
	v_mul_u32_u24_sdwa v37, v37, v106 dst_sel:DWORD dst_unused:UNUSED_PAD src0_sel:WORD_1 src1_sel:DWORD
	v_pk_fma_f16 v51, v51, v164, v168
	v_pk_fma_f16 v52, v52, v164, v170
	v_mul_u32_u24_sdwa v135, v39, v106 dst_sel:DWORD dst_unused:UNUSED_PAD src0_sel:WORD_0 src1_sel:DWORD
	v_pk_fma_f16 v165, v33, v107, v171
	v_pk_fma_f16 v33, v33, v37, v172
	;; [unrolled: 1-line block ×16, first 2 shown]
	v_mul_u32_u24_sdwa v39, v39, v106 dst_sel:DWORD dst_unused:UNUSED_PAD src0_sel:WORD_1 src1_sel:DWORD
	v_pk_fma_f16 v37, v21, v90, v165
	v_pk_fma_f16 v21, v21, v38, v33
	;; [unrolled: 1-line block ×16, first 2 shown]
	v_mul_u32_u24_sdwa v164, v40, v106 dst_sel:DWORD dst_unused:UNUSED_PAD src0_sel:WORD_0 src1_sel:DWORD
	v_mul_u32_u24_sdwa v40, v40, v106 dst_sel:DWORD dst_unused:UNUSED_PAD src0_sel:WORD_1 src1_sel:DWORD
	v_pk_fma_f16 v28, v13, v135, v37
	v_pk_fma_f16 v13, v13, v39, v21
	;; [unrolled: 1-line block ×32, first 2 shown]
	v_mul_u32_u24_sdwa v12, v116, v106 dst_sel:DWORD dst_unused:UNUSED_PAD src0_sel:WORD_0 src1_sel:DWORD
	v_mul_u32_u24_sdwa v17, v116, v106 dst_sel:DWORD dst_unused:UNUSED_PAD src0_sel:WORD_1 src1_sel:DWORD
	v_mul_u32_u24_sdwa v18, v117, v106 dst_sel:DWORD dst_unused:UNUSED_PAD src0_sel:WORD_0 src1_sel:DWORD
	v_mul_u32_u24_sdwa v19, v117, v106 dst_sel:DWORD dst_unused:UNUSED_PAD src0_sel:WORD_1 src1_sel:DWORD
	s_mul_hi_i32 s7, s6, s9
	v_pk_fma_f16 v20, v108, v12, v20
	v_pk_fma_f16 v5, v108, v17, v5
	;; [unrolled: 1-line block ×15, first 2 shown]
	s_mul_i32 s6, s6, s9
	v_mul_u32_u24_sdwa v21, v118, v106 dst_sel:DWORD dst_unused:UNUSED_PAD src0_sel:WORD_0 src1_sel:DWORD
	v_mul_u32_u24_sdwa v22, v118, v106 dst_sel:DWORD dst_unused:UNUSED_PAD src0_sel:WORD_1 src1_sel:DWORD
	v_pk_fma_f16 v4, v115, v17, v4
	v_pk_fma_f16 v12, v136, v18, v20
	;; [unrolled: 1-line block ×16, first 2 shown]
	s_lshl_b64 s[6:7], s[6:7], 2
	v_mul_u32_u24_sdwa v23, v119, v106 dst_sel:DWORD dst_unused:UNUSED_PAD src0_sel:WORD_0 src1_sel:DWORD
	v_add_co_u32 v79, vcc_lo, v103, s6
	v_add_co_ci_u32_e64 v80, null, s7, v104, vcc_lo
	v_mul_u32_u24_sdwa v89, v119, v106 dst_sel:DWORD dst_unused:UNUSED_PAD src0_sel:WORD_1 src1_sel:DWORD
	v_pk_fma_f16 v4, v143, v19, v4
	v_pk_fma_f16 v12, v144, v21, v12
	;; [unrolled: 1-line block ×16, first 2 shown]
	v_mul_u32_u24_sdwa v90, v120, v106 dst_sel:DWORD dst_unused:UNUSED_PAD src0_sel:WORD_0 src1_sel:DWORD
	v_mul_u32_u24_sdwa v124, v120, v106 dst_sel:DWORD dst_unused:UNUSED_PAD src0_sel:WORD_1 src1_sel:DWORD
	v_mul_u32_u24_sdwa v164, v121, v106 dst_sel:DWORD dst_unused:UNUSED_PAD src0_sel:WORD_0 src1_sel:DWORD
	v_mul_u32_u24_sdwa v165, v121, v106 dst_sel:DWORD dst_unused:UNUSED_PAD src0_sel:WORD_1 src1_sel:DWORD
	;; [unrolled: 2-line block ×3, first 2 shown]
	v_pk_fma_f16 v172, v151, v22, v4
	v_pk_fma_f16 v173, v152, v23, v12
	;; [unrolled: 1-line block ×19, first 2 shown]
	v_mul_u32_u24_sdwa v168, v123, v106 dst_sel:DWORD dst_unused:UNUSED_PAD src0_sel:WORD_0 src1_sel:DWORD
	v_mul_u32_u24_sdwa v123, v123, v106 dst_sel:DWORD dst_unused:UNUSED_PAD src0_sel:WORD_1 src1_sel:DWORD
	s_waitcnt vmcnt(1)
	ds_write_b128 v100, v[156:159]
	s_waitcnt vmcnt(0)
	ds_write_b128 v101, v[160:163]
	s_waitcnt lgkmcnt(0)
	s_barrier
	buffer_gl0_inv
	ds_read2_b64 v[1:4], v102 offset1:32
	ds_read2_b64 v[5:8], v102 offset0:64 offset1:96
	ds_read_b128 v[9:12], v99 offset:192
	ds_read_b128 v[13:16], v99 offset:208
	ds_read2_b64 v[17:20], v102 offset0:128 offset1:160
	ds_read2_b64 v[21:24], v102 offset0:192 offset1:224
	ds_read2_b64 v[25:28], v130 offset1:32
	ds_read2_b64 v[33:36], v130 offset0:64 offset1:96
	ds_read2_b64 v[37:40], v130 offset0:128 offset1:160
	ds_read2_b64 v[49:52], v130 offset0:192 offset1:224
	ds_read2_b64 v[107:110], v131 offset1:32
	ds_read2_b64 v[111:114], v131 offset0:64 offset1:96
	;; [unrolled: 4-line block ×3, first 2 shown]
	ds_read2_b64 v[141:144], v132 offset0:128 offset1:160
	ds_read2_b64 v[145:148], v132 offset0:192 offset1:224
	s_waitcnt lgkmcnt(0)
	s_barrier
	buffer_gl0_inv
	s_clause 0x1
	global_load_dwordx4 v[149:152], v[79:80], off
	global_load_dwordx4 v[153:156], v[79:80], off offset:512
	v_pk_fma_f16 v79, v69, v90, v173
	v_pk_fma_f16 v69, v69, v124, v174
	;; [unrolled: 1-line block ×62, first 2 shown]
	v_mul_u32_u24_sdwa v48, v9, v106 dst_sel:DWORD dst_unused:UNUSED_PAD src0_sel:WORD_0 src1_sel:DWORD
	v_mul_u32_u24_sdwa v9, v9, v106 dst_sel:DWORD dst_unused:UNUSED_PAD src0_sel:WORD_1 src1_sel:DWORD
	v_mul_u32_u24_sdwa v57, v10, v106 dst_sel:DWORD dst_unused:UNUSED_PAD src0_sel:WORD_0 src1_sel:DWORD
	v_mul_u32_u24_sdwa v10, v10, v106 dst_sel:DWORD dst_unused:UNUSED_PAD src0_sel:WORD_1 src1_sel:DWORD
	;; [unrolled: 2-line block ×3, first 2 shown]
	v_pk_fma_f16 v16, v1, v48, v60
	v_pk_fma_f16 v1, v1, v9, v41
	v_pk_fma_f16 v41, v2, v48, v53
	v_pk_fma_f16 v2, v2, v9, v42
	v_pk_fma_f16 v42, v3, v48, v54
	v_pk_fma_f16 v3, v3, v9, v43
	v_pk_fma_f16 v43, v4, v48, v55
	v_pk_fma_f16 v4, v4, v9, v44
	v_pk_fma_f16 v44, v5, v48, v56
	v_pk_fma_f16 v5, v5, v9, v29
	v_pk_fma_f16 v29, v6, v48, v45
	v_pk_fma_f16 v6, v6, v9, v30
	v_pk_fma_f16 v30, v7, v48, v46
	v_mul_u32_u24_sdwa v58, v11, v106 dst_sel:DWORD dst_unused:UNUSED_PAD src0_sel:WORD_0 src1_sel:DWORD
	v_mul_u32_u24_sdwa v11, v11, v106 dst_sel:DWORD dst_unused:UNUSED_PAD src0_sel:WORD_1 src1_sel:DWORD
	v_pk_fma_f16 v7, v7, v9, v31
	v_pk_fma_f16 v31, v8, v48, v47
	v_pk_fma_f16 v8, v8, v9, v32
	v_pk_fma_f16 v9, v17, v57, v16
	v_pk_fma_f16 v1, v17, v10, v1
	v_pk_fma_f16 v16, v18, v57, v41
	v_pk_fma_f16 v2, v18, v10, v2
	v_pk_fma_f16 v17, v19, v57, v42
	v_pk_fma_f16 v3, v19, v10, v3
	v_pk_fma_f16 v18, v20, v57, v43
	v_pk_fma_f16 v4, v20, v10, v4
	v_pk_fma_f16 v19, v21, v57, v44
	v_pk_fma_f16 v5, v21, v10, v5
	v_pk_fma_f16 v20, v22, v57, v29
	v_pk_fma_f16 v6, v22, v10, v6
	v_pk_fma_f16 v21, v23, v57, v30
	v_mul_u32_u24_sdwa v59, v12, v106 dst_sel:DWORD dst_unused:UNUSED_PAD src0_sel:WORD_0 src1_sel:DWORD
	v_mul_u32_u24_sdwa v12, v12, v106 dst_sel:DWORD dst_unused:UNUSED_PAD src0_sel:WORD_1 src1_sel:DWORD
	v_pk_fma_f16 v7, v23, v10, v7
	v_pk_fma_f16 v22, v24, v57, v31
	v_pk_fma_f16 v8, v24, v10, v8
	;; [unrolled: 18-line block ×5, first 2 shown]
	v_pk_fma_f16 v9, v115, v62, v9
	v_pk_fma_f16 v1, v115, v14, v1
	;; [unrolled: 1-line block ×48, first 2 shown]
	s_waitcnt vmcnt(1)
	ds_write_b128 v100, v[149:152]
	s_waitcnt vmcnt(0)
	ds_write_b128 v101, v[153:156]
	s_waitcnt lgkmcnt(0)
	s_barrier
	buffer_gl0_inv
	ds_read2_b64 v[1:4], v102 offset1:32
	ds_read2_b64 v[5:8], v102 offset0:64 offset1:96
	ds_read_b128 v[9:12], v99 offset:224
	ds_read_b128 v[13:16], v99 offset:240
	ds_read2_b64 v[17:20], v102 offset0:128 offset1:160
	ds_read2_b64 v[21:24], v102 offset0:192 offset1:224
	ds_read2_b64 v[25:28], v130 offset1:32
	ds_read2_b64 v[29:32], v130 offset0:64 offset1:96
	ds_read2_b64 v[33:36], v130 offset0:128 offset1:160
	ds_read2_b64 v[37:40], v130 offset0:192 offset1:224
	ds_read2_b64 v[41:44], v131 offset1:32
	ds_read2_b64 v[45:48], v131 offset0:64 offset1:96
	;; [unrolled: 4-line block ×3, first 2 shown]
	ds_read2_b64 v[65:68], v132 offset0:128 offset1:160
	ds_read2_b64 v[69:72], v132 offset0:192 offset1:224
	s_waitcnt lgkmcnt(0)
	s_barrier
	buffer_gl0_inv
	s_load_dword s6, s[0:1], 0x4
	v_mul_u32_u24_sdwa v76, v9, v106 dst_sel:DWORD dst_unused:UNUSED_PAD src0_sel:WORD_0 src1_sel:DWORD
	v_mul_u32_u24_sdwa v9, v9, v106 dst_sel:DWORD dst_unused:UNUSED_PAD src0_sel:WORD_1 src1_sel:DWORD
	v_mul_u32_u24_sdwa v79, v10, v106 dst_sel:DWORD dst_unused:UNUSED_PAD src0_sel:WORD_0 src1_sel:DWORD
	v_mul_u32_u24_sdwa v10, v10, v106 dst_sel:DWORD dst_unused:UNUSED_PAD src0_sel:WORD_1 src1_sel:DWORD
	v_mul_u32_u24_sdwa v117, v11, v106 dst_sel:DWORD dst_unused:UNUSED_PAD src0_sel:WORD_0 src1_sel:DWORD
	v_pk_fma_f16 v80, v1, v76, v80
	v_pk_fma_f16 v1, v1, v9, v89
	;; [unrolled: 1-line block ×16, first 2 shown]
	v_mul_u32_u24_sdwa v11, v11, v106 dst_sel:DWORD dst_unused:UNUSED_PAD src0_sel:WORD_1 src1_sel:DWORD
	v_pk_fma_f16 v9, v17, v79, v80
	v_pk_fma_f16 v1, v17, v10, v1
	v_pk_fma_f16 v17, v18, v79, v89
	v_pk_fma_f16 v2, v18, v10, v2
	v_pk_fma_f16 v18, v19, v79, v90
	v_pk_fma_f16 v3, v19, v10, v3
	v_pk_fma_f16 v19, v20, v79, v107
	v_pk_fma_f16 v4, v20, v10, v4
	v_pk_fma_f16 v20, v21, v79, v108
	v_pk_fma_f16 v5, v21, v10, v5
	v_pk_fma_f16 v21, v22, v79, v109
	v_pk_fma_f16 v6, v22, v10, v6
	v_pk_fma_f16 v22, v23, v79, v110
	v_pk_fma_f16 v7, v23, v10, v7
	v_pk_fma_f16 v23, v24, v79, v73
	v_pk_fma_f16 v8, v24, v10, v8
	v_mul_u32_u24_sdwa v118, v12, v106 dst_sel:DWORD dst_unused:UNUSED_PAD src0_sel:WORD_0 src1_sel:DWORD
	v_mul_u32_u24_sdwa v12, v12, v106 dst_sel:DWORD dst_unused:UNUSED_PAD src0_sel:WORD_1 src1_sel:DWORD
	v_pk_fma_f16 v9, v25, v117, v9
	v_pk_fma_f16 v1, v25, v11, v1
	v_pk_fma_f16 v10, v26, v117, v17
	v_pk_fma_f16 v2, v26, v11, v2
	v_pk_fma_f16 v17, v27, v117, v18
	v_pk_fma_f16 v3, v27, v11, v3
	v_pk_fma_f16 v18, v28, v117, v19
	v_pk_fma_f16 v4, v28, v11, v4
	v_pk_fma_f16 v19, v29, v117, v20
	v_pk_fma_f16 v5, v29, v11, v5
	v_pk_fma_f16 v20, v30, v117, v21
	v_pk_fma_f16 v6, v30, v11, v6
	v_pk_fma_f16 v21, v31, v117, v22
	v_pk_fma_f16 v7, v31, v11, v7
	v_pk_fma_f16 v22, v32, v117, v23
	v_pk_fma_f16 v8, v32, v11, v8
	v_mul_u32_u24_sdwa v119, v13, v106 dst_sel:DWORD dst_unused:UNUSED_PAD src0_sel:WORD_0 src1_sel:DWORD
	;; [unrolled: 18-line block ×5, first 2 shown]
	v_mul_u32_u24_sdwa v16, v16, v106 dst_sel:DWORD dst_unused:UNUSED_PAD src0_sel:WORD_1 src1_sel:DWORD
	v_pk_fma_f16 v9, v57, v121, v9
	v_pk_fma_f16 v1, v57, v15, v1
	;; [unrolled: 1-line block ×16, first 2 shown]
	s_waitcnt lgkmcnt(0)
	s_lshl_b32 s6, s6, 6
	v_pk_fma_f16 v119, v65, v130, v9
	v_pk_fma_f16 v113, v65, v16, v1
	;; [unrolled: 1-line block ×16, first 2 shown]
	s_add_i32 s8, s6, s8
	s_cmp_ge_i32 s8, s30
	s_cbranch_scc1 .LBB26_31
; %bb.30:                               ;   in Loop: Header=BB26_13 Depth=1
	v_mov_b32_e32 v89, v87
	v_mov_b32_e32 v90, v88
	;; [unrolled: 1-line block ×4, first 2 shown]
	s_branch .LBB26_13
.LBB26_31:
	v_mov_b32_e32 v2, v94
.LBB26_32:
	v_cmp_lt_i32_e32 vcc_lo, v129, v95
	s_cmp_lg_u64 s[16:17], 0
	s_cselect_b32 s0, -1, 0
	s_cmp_eq_u32 s28, 0
	v_cndmask_b32_e32 v1, v2, v129, vcc_lo
	v_cmp_lt_i32_e32 vcc_lo, v125, v95
	s_cselect_b32 s1, -1, 0
	s_and_b32 s0, s1, s0
	v_lshlrev_b32_e32 v1, 2, v1
	v_cndmask_b32_e32 v4, v2, v125, vcc_lo
	v_cmp_lt_i32_e32 vcc_lo, v126, v95
	ds_bpermute_b32 v3, v1, v77
	ds_bpermute_b32 v1, v1, v78
	v_lshlrev_b32_e32 v4, 2, v4
	v_cndmask_b32_e32 v6, v2, v126, vcc_lo
	v_cmp_lt_i32_e32 vcc_lo, v127, v95
	v_lshlrev_b32_e32 v6, 2, v6
	s_waitcnt lgkmcnt(1)
	v_add_f32_e32 v3, v77, v3
	s_waitcnt lgkmcnt(0)
	v_add_f32_e32 v1, v78, v1
	ds_bpermute_b32 v5, v4, v3
	ds_bpermute_b32 v4, v4, v1
	s_waitcnt lgkmcnt(1)
	v_add_f32_e32 v3, v3, v5
	s_waitcnt lgkmcnt(0)
	v_add_f32_e32 v1, v1, v4
	ds_bpermute_b32 v4, v6, v3
	ds_bpermute_b32 v5, v6, v1
	v_cndmask_b32_e32 v6, v2, v127, vcc_lo
	v_cmp_lt_i32_e32 vcc_lo, v128, v95
	v_lshlrev_b32_e32 v6, 2, v6
	v_cndmask_b32_e32 v2, v2, v128, vcc_lo
	s_and_b32 vcc_lo, exec_lo, s0
	v_lshlrev_b32_e32 v2, 2, v2
	s_waitcnt lgkmcnt(1)
	v_add_f32_e32 v3, v3, v4
	s_waitcnt lgkmcnt(0)
	v_add_f32_e32 v1, v1, v5
	ds_bpermute_b32 v4, v6, v3
	ds_bpermute_b32 v5, v6, v1
	s_waitcnt lgkmcnt(1)
	v_add_f32_e32 v3, v3, v4
	s_waitcnt lgkmcnt(0)
	v_add_f32_e32 v1, v1, v5
	ds_bpermute_b32 v4, v2, v3
	ds_bpermute_b32 v2, v2, v1
	s_waitcnt lgkmcnt(1)
	v_add_f32_e32 v3, v3, v4
	s_waitcnt lgkmcnt(0)
	v_add_f32_e32 v4, v1, v2
	s_cbranch_vccz .LBB26_35
; %bb.33:
	v_add_nc_u32_e32 v1, s29, v91
	v_max_f32_e32 v5, v87, v87
	v_max_f32_e32 v7, v88, v88
	v_ashrrev_i32_e32 v2, 31, v1
	v_lshlrev_b64 v[1:2], 2, v[1:2]
	v_add_co_u32 v1, vcc_lo, s16, v1
	v_add_co_ci_u32_e64 v2, null, s17, v2, vcc_lo
	global_load_dwordx2 v[1:2], v[1:2], off
	s_waitcnt vmcnt(0)
	v_max_f32_e32 v6, v1, v1
	v_max_f32_e32 v8, v2, v2
	;; [unrolled: 1-line block ×4, first 2 shown]
	v_sub_f32_e32 v7, v87, v5
	v_sub_f32_e32 v1, v1, v5
	;; [unrolled: 1-line block ×4, first 2 shown]
	v_mov_b32_e32 v88, v6
	v_mul_f32_e32 v9, 0x3fb8aa3b, v7
	v_mul_f32_e32 v10, 0x3fb8aa3b, v1
	;; [unrolled: 1-line block ×4, first 2 shown]
	v_cmp_ngt_f32_e32 vcc_lo, 0xc2ce8ed0, v7
	v_fma_f32 v13, 0x3fb8aa3b, v7, -v9
	v_rndne_f32_e32 v14, v9
	v_fma_f32 v15, 0x3fb8aa3b, v1, -v10
	v_rndne_f32_e32 v16, v10
	v_fma_f32 v17, 0x3fb8aa3b, v8, -v11
	v_fmac_f32_e32 v13, 0x32a5705f, v7
	v_sub_f32_e32 v9, v9, v14
	v_rndne_f32_e32 v18, v11
	v_fmac_f32_e32 v15, 0x32a5705f, v1
	v_sub_f32_e32 v10, v10, v16
	v_fma_f32 v19, 0x3fb8aa3b, v2, -v12
	v_add_f32_e32 v9, v9, v13
	v_rndne_f32_e32 v20, v12
	v_fmac_f32_e32 v17, 0x32a5705f, v8
	v_sub_f32_e32 v11, v11, v18
	v_add_f32_e32 v10, v10, v15
	v_exp_f32_e32 v9, v9
	v_fmac_f32_e32 v19, 0x32a5705f, v2
	v_sub_f32_e32 v12, v12, v20
	v_add_f32_e32 v11, v11, v17
	v_exp_f32_e32 v10, v10
	v_cvt_i32_f32_e32 v13, v14
	v_cvt_i32_f32_e32 v14, v16
	v_add_f32_e32 v12, v12, v19
	v_exp_f32_e32 v11, v11
	v_cvt_i32_f32_e32 v15, v18
	v_ldexp_f32 v9, v9, v13
	v_cvt_i32_f32_e32 v16, v20
	v_exp_f32_e32 v12, v12
	v_mov_b32_e32 v17, 0x10001
	v_ldexp_f32 v10, v10, v14
	v_cndmask_b32_e32 v9, 0, v9, vcc_lo
	v_cmp_ngt_f32_e32 vcc_lo, 0xc2ce8ed0, v1
	v_mov_b32_e32 v87, v5
	v_ldexp_f32 v11, v11, v15
	v_cndmask_b32_e32 v10, 0, v10, vcc_lo
	v_cmp_ngt_f32_e32 vcc_lo, 0xc2ce8ed0, v8
	v_ldexp_f32 v12, v12, v16
	v_cndmask_b32_e32 v11, 0, v11, vcc_lo
	v_cmp_ngt_f32_e32 vcc_lo, 0xc2ce8ed0, v2
	v_cndmask_b32_e32 v12, 0, v12, vcc_lo
	v_cmp_nlt_f32_e32 vcc_lo, 0x42b17218, v7
	v_cndmask_b32_e32 v7, 0x7f800000, v9, vcc_lo
	v_cmp_nlt_f32_e32 vcc_lo, 0x42b17218, v8
	v_cvt_f16_f32_e32 v9, v7
	v_cndmask_b32_e32 v8, 0x7f800000, v11, vcc_lo
	v_cmp_nlt_f32_e32 vcc_lo, 0x42b17218, v1
	v_cndmask_b32_e32 v1, 0x7f800000, v10, vcc_lo
	v_cmp_nlt_f32_e32 vcc_lo, 0x42b17218, v2
	v_cvt_f16_f32_e32 v10, v8
	v_fmac_f32_e32 v1, v3, v7
	v_cndmask_b32_e32 v2, 0x7f800000, v12, vcc_lo
	v_mul_u32_u24_sdwa v7, v9, v17 dst_sel:DWORD dst_unused:UNUSED_PAD src0_sel:WORD_0 src1_sel:DWORD
	v_mov_b32_e32 v3, v1
	v_fmac_f32_e32 v2, v4, v8
	v_mul_u32_u24_sdwa v4, v10, v17 dst_sel:DWORD dst_unused:UNUSED_PAD src0_sel:WORD_0 src1_sel:DWORD
	v_pk_mul_f16 v119, v119, v7
	v_pk_mul_f16 v124, v124, v7
	;; [unrolled: 1-line block ×16, first 2 shown]
	v_mov_b32_e32 v4, v2
	s_mov_b32 s0, exec_lo
	v_cmpx_gt_i32_e64 s2, v81
	s_cbranch_execnz .LBB26_36
.LBB26_34:
	s_endpgm
.LBB26_35:
	v_mov_b32_e32 v1, v3
	v_mov_b32_e32 v2, v4
	s_mov_b32 s0, exec_lo
	v_cmpx_gt_i32_e64 s2, v81
	s_cbranch_execz .LBB26_34
.LBB26_36:
	s_load_dword s1, s[4:5], 0xd4
	v_mov_b32_e32 v7, 1.0
	s_waitcnt lgkmcnt(0)
	s_cmp_lg_u32 s1, 1
	s_cselect_b32 s5, -1, 0
	s_cmp_eq_u32 s1, 1
	s_cselect_b32 s4, -1, 0
	s_and_b32 vcc_lo, exec_lo, s5
	s_cbranch_vccnz .LBB26_38
; %bb.37:
	v_div_scale_f32 v5, null, v3, v3, 1.0
	v_rcp_f32_e32 v6, v5
	v_fma_f32 v7, -v5, v6, 1.0
	v_fmac_f32_e32 v6, v7, v6
	v_div_scale_f32 v7, vcc_lo, 1.0, v3, 1.0
	v_mul_f32_e32 v8, v7, v6
	v_fma_f32 v9, -v5, v8, v7
	v_fmac_f32_e32 v8, v9, v6
	v_fma_f32 v5, -v5, v8, v7
	v_div_fmas_f32 v5, v5, v6, v8
	v_div_fixup_f32 v7, v5, v3, 1.0
.LBB26_38:
	v_mad_u64_u32 v[5:6], null, s33, s2, v[81:82]
	v_cvt_f32_f16_sdwa v8, v119 dst_sel:DWORD dst_unused:UNUSED_PAD src0_sel:WORD_1
	v_cvt_f32_f16_e32 v12, v119
	v_mov_b32_e32 v21, 0
	v_cvt_f32_f16_sdwa v13, v123 dst_sel:DWORD dst_unused:UNUSED_PAD src0_sel:WORD_1
	v_cvt_f32_f16_sdwa v16, v122 dst_sel:DWORD dst_unused:UNUSED_PAD src0_sel:WORD_1
	v_cvt_f32_f16_e32 v17, v122
	v_mul_lo_u32 v5, v5, s3
	v_mul_f32_e32 v9, v7, v8
	v_mul_f32_e32 v8, v7, v12
	;; [unrolled: 1-line block ×5, first 2 shown]
	v_mov_b32_e32 v17, v21
	v_mov_b32_e32 v23, v21
	v_add3_u32 v5, s29, v91, v5
	v_cvt_f32_f16_sdwa v18, v121 dst_sel:DWORD dst_unused:UNUSED_PAD src0_sel:WORD_1
	v_cvt_f32_f16_e32 v26, v121
	v_cmp_eq_u32_e32 vcc_lo, 0, v0
	v_cvt_f32_f16_sdwa v0, v124 dst_sel:DWORD dst_unused:UNUSED_PAD src0_sel:WORD_1
	v_mad_u64_u32 v[5:6], null, s1, v5, s[28:29]
	v_cvt_f32_f16_e32 v6, v120
	v_cvt_f32_f16_e32 v3, v124
	v_cvt_f32_f16_sdwa v28, v120 dst_sel:DWORD dst_unused:UNUSED_PAD src0_sel:WORD_1
	v_cvt_f32_f16_e32 v14, v123
	v_mul_f32_e32 v19, v7, v18
	v_mul_f32_e32 v18, v7, v26
	v_lshl_add_u32 v20, v5, 9, v92
	v_mul_f32_e32 v11, v7, v0
	v_mul_f32_e32 v10, v7, v3
	v_cvt_f32_f16_sdwa v0, v118 dst_sel:DWORD dst_unused:UNUSED_PAD src0_sel:WORD_1
	v_cvt_f32_f16_e32 v3, v118
	v_add_nc_u32_e32 v16, 0x80, v20
	v_add_nc_u32_e32 v22, 0x100, v20
	v_lshlrev_b64 v[24:25], 2, v[20:21]
	v_add_nc_u32_e32 v20, 0x180, v20
	v_cvt_f32_f16_e32 v32, v117
	v_lshlrev_b64 v[16:17], 2, v[16:17]
	v_lshlrev_b64 v[22:23], 2, v[22:23]
	v_mul_f32_e32 v14, v7, v14
	v_add_co_u32 v24, s0, s20, v24
	v_lshlrev_b64 v[30:31], 2, v[20:21]
	v_add_co_ci_u32_e64 v25, null, s21, v25, s0
	v_add_co_u32 v26, s0, s20, v16
	v_mul_f32_e32 v16, v7, v6
	v_cvt_f32_f16_sdwa v6, v117 dst_sel:DWORD dst_unused:UNUSED_PAD src0_sel:WORD_1
	v_add_co_ci_u32_e64 v27, null, s21, v17, s0
	v_mul_f32_e32 v17, v7, v28
	v_add_co_u32 v28, s0, s20, v22
	v_add_co_ci_u32_e64 v29, null, s21, v23, s0
	v_mul_f32_e32 v21, v7, v6
	v_add_co_u32 v6, s0, s20, v30
	v_mul_f32_e32 v23, v7, v0
	v_mul_f32_e32 v22, v7, v3
	v_mul_f32_e32 v20, v7, v32
	v_add_co_ci_u32_e64 v7, null, s21, v31, s0
	s_and_b32 s0, vcc_lo, s5
	global_store_dwordx4 v[24:25], v[8:11], off
	global_store_dwordx4 v[26:27], v[12:15], off
	;; [unrolled: 1-line block ×4, first 2 shown]
	s_and_saveexec_b32 s2, s0
	s_cbranch_execz .LBB26_40
; %bb.39:
	v_ashrrev_i32_e32 v6, 31, v5
	v_mov_b32_e32 v0, v87
	v_lshlrev_b64 v[6:7], 3, v[5:6]
	v_add_co_u32 v6, vcc_lo, s22, v6
	v_add_co_ci_u32_e64 v7, null, s23, v7, vcc_lo
	global_store_dwordx2 v[6:7], v[0:1], off
.LBB26_40:
	s_or_b32 exec_lo, exec_lo, s2
	v_mov_b32_e32 v1, 1.0
	s_andn2_b32 vcc_lo, exec_lo, s4
	s_cbranch_vccnz .LBB26_42
; %bb.41:
	v_div_scale_f32 v0, null, v4, v4, 1.0
	v_rcp_f32_e32 v1, v0
	v_fma_f32 v3, -v0, v1, 1.0
	v_fmac_f32_e32 v1, v3, v1
	v_div_scale_f32 v3, vcc_lo, 1.0, v4, 1.0
	v_mul_f32_e32 v6, v3, v1
	v_fma_f32 v7, -v0, v6, v3
	v_fmac_f32_e32 v6, v7, v1
	v_fma_f32 v0, -v0, v6, v3
	v_div_fmas_f32 v0, v0, v1, v6
	v_div_fixup_f32 v1, v0, v4, 1.0
.LBB26_42:
	v_add_nc_u32_e32 v0, s1, v5
	v_cvt_f32_f16_sdwa v3, v116 dst_sel:DWORD dst_unused:UNUSED_PAD src0_sel:WORD_1
	v_mov_b32_e32 v16, 0
	v_cvt_f32_f16_e32 v4, v116
	v_cvt_f32_f16_sdwa v9, v113 dst_sel:DWORD dst_unused:UNUSED_PAD src0_sel:WORD_1
	v_lshl_add_u32 v15, v0, 9, v92
	v_cvt_f32_f16_e32 v10, v113
	v_mul_f32_e32 v6, v1, v3
	v_mul_f32_e32 v5, v1, v4
	;; [unrolled: 1-line block ×3, first 2 shown]
	v_add_nc_u32_e32 v9, 0x80, v15
	v_mul_f32_e32 v3, v1, v10
	v_mov_b32_e32 v10, v16
	v_lshlrev_b64 v[7:8], 2, v[15:16]
	v_cvt_f32_f16_sdwa v13, v114 dst_sel:DWORD dst_unused:UNUSED_PAD src0_sel:WORD_1
	v_cvt_f32_f16_e32 v25, v111
	v_cvt_f32_f16_e32 v14, v114
	v_lshlrev_b64 v[11:12], 2, v[9:10]
	v_cvt_f32_f16_e32 v23, v112
	v_add_co_u32 v19, vcc_lo, s20, v7
	v_add_co_ci_u32_e64 v20, null, s21, v8, vcc_lo
	v_add_co_u32 v21, vcc_lo, s20, v11
	v_add_co_ci_u32_e64 v22, null, s21, v12, vcc_lo
	v_add_nc_u32_e32 v11, 0x100, v15
	v_mov_b32_e32 v12, v16
	v_cvt_f32_f16_e32 v8, v115
	v_add_nc_u32_e32 v15, 0x180, v15
	v_cvt_f32_f16_sdwa v7, v115 dst_sel:DWORD dst_unused:UNUSED_PAD src0_sel:WORD_1
	v_cvt_f32_f16_sdwa v24, v111 dst_sel:DWORD dst_unused:UNUSED_PAD src0_sel:WORD_1
	v_lshlrev_b64 v[17:18], 2, v[11:12]
	v_mul_f32_e32 v9, v1, v8
	v_mul_f32_e32 v8, v1, v13
	v_cvt_f32_f16_sdwa v13, v112 dst_sel:DWORD dst_unused:UNUSED_PAD src0_sel:WORD_1
	v_mul_f32_e32 v11, v1, v25
	v_lshlrev_b64 v[25:26], 2, v[15:16]
	v_mul_f32_e32 v10, v1, v7
	v_mul_f32_e32 v7, v1, v14
	;; [unrolled: 1-line block ×4, first 2 shown]
	v_add_co_u32 v23, vcc_lo, s20, v17
	v_cvt_f32_f16_sdwa v17, v109 dst_sel:DWORD dst_unused:UNUSED_PAD src0_sel:WORD_1
	v_cvt_f32_f16_e32 v27, v109
	v_cvt_f32_f16_sdwa v28, v110 dst_sel:DWORD dst_unused:UNUSED_PAD src0_sel:WORD_1
	v_cvt_f32_f16_e32 v29, v110
	v_mul_f32_e32 v12, v1, v24
	v_add_co_ci_u32_e64 v24, null, s21, v18, vcc_lo
	v_add_co_u32 v25, vcc_lo, s20, v25
	v_mul_f32_e32 v18, v1, v17
	v_mul_f32_e32 v17, v1, v27
	;; [unrolled: 1-line block ×4, first 2 shown]
	v_add_co_ci_u32_e64 v26, null, s21, v26, vcc_lo
	global_store_dwordx4 v[19:20], v[3:6], off
	global_store_dwordx4 v[21:22], v[7:10], off
	;; [unrolled: 1-line block ×4, first 2 shown]
	s_and_b32 exec_lo, exec_lo, s0
	s_cbranch_execz .LBB26_34
; %bb.43:
	v_ashrrev_i32_e32 v1, 31, v0
	v_lshlrev_b64 v[0:1], 3, v[0:1]
	v_add_co_u32 v3, vcc_lo, s22, v0
	v_add_co_ci_u32_e64 v4, null, s23, v1, vcc_lo
	v_mov_b32_e32 v1, v88
	global_store_dwordx2 v[3:4], v[1:2], off
	s_endpgm
	.section	.rodata,"a",@progbits
	.p2align	6, 0x0
	.amdhsa_kernel _ZL15flash_attn_tileILi576ELi512ELi4ELi4ELb1EEvPKcS1_S1_S1_S1_PKiPfP15HIP_vector_typeIfLj2EEffffjfiS5_IjLj3EEiiiiiiiiiiiliiliiiiil
		.amdhsa_group_segment_fixed_size 29696
		.amdhsa_private_segment_fixed_size 0
		.amdhsa_kernarg_size 464
		.amdhsa_user_sgpr_count 6
		.amdhsa_user_sgpr_private_segment_buffer 1
		.amdhsa_user_sgpr_dispatch_ptr 0
		.amdhsa_user_sgpr_queue_ptr 0
		.amdhsa_user_sgpr_kernarg_segment_ptr 1
		.amdhsa_user_sgpr_dispatch_id 0
		.amdhsa_user_sgpr_flat_scratch_init 0
		.amdhsa_user_sgpr_private_segment_size 0
		.amdhsa_wavefront_size32 1
		.amdhsa_uses_dynamic_stack 0
		.amdhsa_system_sgpr_private_segment_wavefront_offset 0
		.amdhsa_system_sgpr_workgroup_id_x 1
		.amdhsa_system_sgpr_workgroup_id_y 1
		.amdhsa_system_sgpr_workgroup_id_z 1
		.amdhsa_system_sgpr_workgroup_info 0
		.amdhsa_system_vgpr_workitem_id 1
		.amdhsa_next_free_vgpr 185
		.amdhsa_next_free_sgpr 40
		.amdhsa_reserve_vcc 1
		.amdhsa_reserve_flat_scratch 0
		.amdhsa_float_round_mode_32 0
		.amdhsa_float_round_mode_16_64 0
		.amdhsa_float_denorm_mode_32 3
		.amdhsa_float_denorm_mode_16_64 3
		.amdhsa_dx10_clamp 1
		.amdhsa_ieee_mode 1
		.amdhsa_fp16_overflow 0
		.amdhsa_workgroup_processor_mode 1
		.amdhsa_memory_ordered 1
		.amdhsa_forward_progress 1
		.amdhsa_shared_vgpr_count 0
		.amdhsa_exception_fp_ieee_invalid_op 0
		.amdhsa_exception_fp_denorm_src 0
		.amdhsa_exception_fp_ieee_div_zero 0
		.amdhsa_exception_fp_ieee_overflow 0
		.amdhsa_exception_fp_ieee_underflow 0
		.amdhsa_exception_fp_ieee_inexact 0
		.amdhsa_exception_int_div_zero 0
	.end_amdhsa_kernel
	.section	.text._ZL15flash_attn_tileILi576ELi512ELi4ELi4ELb1EEvPKcS1_S1_S1_S1_PKiPfP15HIP_vector_typeIfLj2EEffffjfiS5_IjLj3EEiiiiiiiiiiiliiliiiiil,"axG",@progbits,_ZL15flash_attn_tileILi576ELi512ELi4ELi4ELb1EEvPKcS1_S1_S1_S1_PKiPfP15HIP_vector_typeIfLj2EEffffjfiS5_IjLj3EEiiiiiiiiiiiliiliiiiil,comdat
.Lfunc_end26:
	.size	_ZL15flash_attn_tileILi576ELi512ELi4ELi4ELb1EEvPKcS1_S1_S1_S1_PKiPfP15HIP_vector_typeIfLj2EEffffjfiS5_IjLj3EEiiiiiiiiiiiliiliiiiil, .Lfunc_end26-_ZL15flash_attn_tileILi576ELi512ELi4ELi4ELb1EEvPKcS1_S1_S1_S1_PKiPfP15HIP_vector_typeIfLj2EEffffjfiS5_IjLj3EEiiiiiiiiiiiliiliiiiil
                                        ; -- End function
	.set _ZL15flash_attn_tileILi576ELi512ELi4ELi4ELb1EEvPKcS1_S1_S1_S1_PKiPfP15HIP_vector_typeIfLj2EEffffjfiS5_IjLj3EEiiiiiiiiiiiliiliiiiil.num_vgpr, 185
	.set _ZL15flash_attn_tileILi576ELi512ELi4ELi4ELb1EEvPKcS1_S1_S1_S1_PKiPfP15HIP_vector_typeIfLj2EEffffjfiS5_IjLj3EEiiiiiiiiiiiliiliiiiil.num_agpr, 0
	.set _ZL15flash_attn_tileILi576ELi512ELi4ELi4ELb1EEvPKcS1_S1_S1_S1_PKiPfP15HIP_vector_typeIfLj2EEffffjfiS5_IjLj3EEiiiiiiiiiiiliiliiiiil.numbered_sgpr, 40
	.set _ZL15flash_attn_tileILi576ELi512ELi4ELi4ELb1EEvPKcS1_S1_S1_S1_PKiPfP15HIP_vector_typeIfLj2EEffffjfiS5_IjLj3EEiiiiiiiiiiiliiliiiiil.num_named_barrier, 0
	.set _ZL15flash_attn_tileILi576ELi512ELi4ELi4ELb1EEvPKcS1_S1_S1_S1_PKiPfP15HIP_vector_typeIfLj2EEffffjfiS5_IjLj3EEiiiiiiiiiiiliiliiiiil.private_seg_size, 0
	.set _ZL15flash_attn_tileILi576ELi512ELi4ELi4ELb1EEvPKcS1_S1_S1_S1_PKiPfP15HIP_vector_typeIfLj2EEffffjfiS5_IjLj3EEiiiiiiiiiiiliiliiiiil.uses_vcc, 1
	.set _ZL15flash_attn_tileILi576ELi512ELi4ELi4ELb1EEvPKcS1_S1_S1_S1_PKiPfP15HIP_vector_typeIfLj2EEffffjfiS5_IjLj3EEiiiiiiiiiiiliiliiiiil.uses_flat_scratch, 0
	.set _ZL15flash_attn_tileILi576ELi512ELi4ELi4ELb1EEvPKcS1_S1_S1_S1_PKiPfP15HIP_vector_typeIfLj2EEffffjfiS5_IjLj3EEiiiiiiiiiiiliiliiiiil.has_dyn_sized_stack, 0
	.set _ZL15flash_attn_tileILi576ELi512ELi4ELi4ELb1EEvPKcS1_S1_S1_S1_PKiPfP15HIP_vector_typeIfLj2EEffffjfiS5_IjLj3EEiiiiiiiiiiiliiliiiiil.has_recursion, 0
	.set _ZL15flash_attn_tileILi576ELi512ELi4ELi4ELb1EEvPKcS1_S1_S1_S1_PKiPfP15HIP_vector_typeIfLj2EEffffjfiS5_IjLj3EEiiiiiiiiiiiliiliiiiil.has_indirect_call, 0
	.section	.AMDGPU.csdata,"",@progbits
; Kernel info:
; codeLenInByte = 44752
; TotalNumSgprs: 42
; NumVgprs: 185
; ScratchSize: 0
; MemoryBound: 0
; FloatMode: 240
; IeeeMode: 1
; LDSByteSize: 29696 bytes/workgroup (compile time only)
; SGPRBlocks: 0
; VGPRBlocks: 23
; NumSGPRsForWavesPerEU: 42
; NumVGPRsForWavesPerEU: 185
; Occupancy: 5
; WaveLimiterHint : 1
; COMPUTE_PGM_RSRC2:SCRATCH_EN: 0
; COMPUTE_PGM_RSRC2:USER_SGPR: 6
; COMPUTE_PGM_RSRC2:TRAP_HANDLER: 0
; COMPUTE_PGM_RSRC2:TGID_X_EN: 1
; COMPUTE_PGM_RSRC2:TGID_Y_EN: 1
; COMPUTE_PGM_RSRC2:TGID_Z_EN: 1
; COMPUTE_PGM_RSRC2:TIDIG_COMP_CNT: 1
	.section	.text._ZL15flash_attn_tileILi576ELi512ELi2ELi4ELb1EEvPKcS1_S1_S1_S1_PKiPfP15HIP_vector_typeIfLj2EEffffjfiS5_IjLj3EEiiiiiiiiiiiliiliiiiil,"axG",@progbits,_ZL15flash_attn_tileILi576ELi512ELi2ELi4ELb1EEvPKcS1_S1_S1_S1_PKiPfP15HIP_vector_typeIfLj2EEffffjfiS5_IjLj3EEiiiiiiiiiiiliiliiiiil,comdat
	.globl	_ZL15flash_attn_tileILi576ELi512ELi2ELi4ELb1EEvPKcS1_S1_S1_S1_PKiPfP15HIP_vector_typeIfLj2EEffffjfiS5_IjLj3EEiiiiiiiiiiiliiliiiiil ; -- Begin function _ZL15flash_attn_tileILi576ELi512ELi2ELi4ELb1EEvPKcS1_S1_S1_S1_PKiPfP15HIP_vector_typeIfLj2EEffffjfiS5_IjLj3EEiiiiiiiiiiiliiliiiiil
	.p2align	8
	.type	_ZL15flash_attn_tileILi576ELi512ELi2ELi4ELb1EEvPKcS1_S1_S1_S1_PKiPfP15HIP_vector_typeIfLj2EEffffjfiS5_IjLj3EEiiiiiiiiiiiliiliiiiil,@function
_ZL15flash_attn_tileILi576ELi512ELi2ELi4ELb1EEvPKcS1_S1_S1_S1_PKiPfP15HIP_vector_typeIfLj2EEffffjfiS5_IjLj3EEiiiiiiiiiiiliiliiiiil: ; @_ZL15flash_attn_tileILi576ELi512ELi2ELi4ELb1EEvPKcS1_S1_S1_S1_PKiPfP15HIP_vector_typeIfLj2EEffffjfiS5_IjLj3EEiiiiiiiiiiiliiliiiiil
; %bb.0:
	s_clause 0x1
	s_load_dwordx4 s[0:3], s[4:5], 0x5c
	s_load_dwordx2 s[30:31], s[4:5], 0x80
	s_mov_b32 s28, s7
	s_mov_b64 s[34:35], 0
	s_waitcnt lgkmcnt(0)
	s_ashr_i32 s7, s3, 31
	s_lshr_b32 s7, s7, 30
	s_add_i32 s7, s3, s7
	s_ashr_i32 s7, s7, 2
	v_cvt_f32_u32_e32 v2, s7
	s_sub_i32 s10, 0, s7
	v_rcp_iflag_f32_e32 v2, v2
	v_mul_f32_e32 v2, 0x4f7ffffe, v2
	v_cvt_u32_f32_e32 v2, v2
	v_readfirstlane_b32 s9, v2
	s_mul_i32 s10, s10, s9
	s_mul_hi_u32 s10, s9, s10
	s_add_i32 s9, s9, s10
	s_mul_hi_u32 s9, s8, s9
	s_mul_i32 s10, s9, s7
	s_add_i32 s11, s9, 1
	s_sub_i32 s10, s8, s10
	s_sub_i32 s12, s10, s7
	s_cmp_ge_u32 s10, s7
	s_cselect_b32 s9, s11, s9
	s_cselect_b32 s10, s12, s10
	s_add_i32 s11, s9, 1
	s_cmp_ge_u32 s10, s7
	s_cselect_b32 s7, s11, s9
	s_abs_i32 s9, s31
	s_lshl_b32 s8, s8, 2
	v_cvt_f32_u32_e32 v2, s9
	s_sub_i32 s11, 0, s9
	s_mul_i32 s12, s7, s3
	s_abs_i32 s13, s3
	s_sub_i32 s29, s8, s12
	v_rcp_iflag_f32_e32 v2, v2
	v_mul_f32_e32 v2, 0x4f7ffffe, v2
	v_cvt_u32_f32_e32 v2, v2
	v_readfirstlane_b32 s10, v2
	s_mul_i32 s11, s11, s10
	s_mul_hi_u32 s11, s10, s11
	s_add_i32 s10, s10, s11
	s_mul_hi_u32 s8, s13, s10
	s_xor_b32 s10, s3, s31
	s_mul_i32 s11, s8, s9
	s_ashr_i32 s10, s10, 31
	s_sub_i32 s11, s13, s11
	s_add_i32 s12, s8, 1
	s_sub_i32 s13, s11, s9
	s_cmp_ge_u32 s11, s9
	s_cselect_b32 s8, s12, s8
	s_cselect_b32 s11, s13, s11
	s_add_i32 s12, s8, 1
	s_cmp_ge_u32 s11, s9
	s_cselect_b32 s8, s12, s8
	s_xor_b32 s8, s8, s10
	s_sub_i32 s33, s8, s10
	s_clause 0x1
	s_load_dwordx16 s[8:23], s[4:5], 0x0
	s_load_dwordx2 s[36:37], s[4:5], 0xb8
	s_abs_i32 s31, s33
	v_cvt_f32_u32_e32 v2, s31
	v_rcp_iflag_f32_e32 v2, v2
	v_mul_f32_e32 v2, 0x4f7ffffe, v2
	s_waitcnt lgkmcnt(0)
	s_cmp_eq_u64 s[14:15], 0
	v_cvt_u32_f32_e32 v2, v2
	v_readfirstlane_b32 s38, v2
	s_cbranch_scc1 .LBB27_2
; %bb.1:
	s_abs_i32 s26, s36
	s_abs_i32 s27, s7
	v_cvt_f32_u32_e32 v2, s26
	s_sub_i32 s25, 0, s26
	v_rcp_iflag_f32_e32 v2, v2
	v_mul_f32_e32 v2, 0x4f7ffffe, v2
	v_cvt_u32_f32_e32 v2, v2
	v_readfirstlane_b32 s24, v2
	s_mul_i32 s25, s25, s24
	s_mul_hi_u32 s25, s24, s25
	s_add_i32 s24, s24, s25
	s_mul_hi_u32 s34, s27, s24
	s_load_dwordx2 s[24:25], s[4:5], 0xc8
	s_mul_i32 s34, s34, s26
	s_sub_i32 s27, s27, s34
	s_ashr_i32 s34, s7, 31
	s_sub_i32 s35, s27, s26
	s_cmp_ge_u32 s27, s26
	s_cselect_b32 s27, s35, s27
	s_sub_i32 s35, s27, s26
	s_cmp_ge_u32 s27, s26
	s_cselect_b32 s26, s35, s27
	s_xor_b32 s26, s26, s34
	s_sub_i32 s26, s26, s34
	s_ashr_i32 s27, s26, 31
	s_waitcnt lgkmcnt(0)
	s_mul_hi_u32 s34, s24, s26
	s_mul_i32 s27, s24, s27
	s_mul_i32 s25, s25, s26
	s_add_i32 s27, s34, s27
	s_mul_i32 s24, s24, s26
	s_add_i32 s27, s27, s25
	s_add_u32 s34, s14, s24
	s_addc_u32 s35, s15, s27
.LBB27_2:
	v_lshrrev_b32_e32 v2, 2, v1
	s_load_dwordx4 s[24:27], s[4:5], 0x70
	v_and_b32_e32 v45, 3, v1
	v_mul_u32_u24_e32 v44, 0x480, v1
	v_lshl_add_u32 v37, s6, 1, v2
	v_mul_hi_u32 v2, s0, v37
	v_add_nc_u32_e32 v2, v37, v2
	s_waitcnt lgkmcnt(0)
	s_mul_i32 s14, s7, s26
	s_mov_b32 s0, s25
	v_lshrrev_b32_e32 v2, s1, v2
	s_mul_i32 s1, s29, s25
	s_ashr_i32 s15, s14, 31
	s_add_u32 s8, s8, s14
	s_addc_u32 s9, s9, s15
	v_mul_lo_u32 v2, v2, s2
	s_ashr_i32 s14, s1, 31
	s_add_u32 s15, s8, s1
	s_addc_u32 s14, s9, s14
	s_ashr_i32 s1, s25, 31
	s_ashr_i32 s25, s24, 31
	s_lshr_b64 s[8:9], s[0:1], 2
	s_lshr_b32 s0, s1, 2
	v_sub_nc_u32_e32 v4, v37, v2
	v_mad_u64_u32 v[2:3], null, s8, v45, 0
	s_lshr_b64 s[8:9], s[24:25], 2
	s_mov_b32 s1, exec_lo
	v_mad_u64_u32 v[5:6], null, s8, v4, 0
	v_mad_u64_u32 v[7:8], null, s0, v45, v[3:4]
	s_lshr_b32 s0, s25, 2
	v_mad_u64_u32 v[8:9], null, s0, v4, v[6:7]
	v_mov_b32_e32 v3, v7
	v_lshlrev_b32_e32 v7, 4, v0
	s_load_dword s0, s[4:5], 0x40
	v_lshlrev_b64 v[2:3], 2, v[2:3]
	v_mov_b32_e32 v6, v8
	v_add_co_u32 v2, vcc_lo, s15, v2
	v_lshlrev_b64 v[5:6], 2, v[5:6]
	v_add_co_ci_u32_e64 v3, null, s14, v3, vcc_lo
	v_add_co_u32 v2, vcc_lo, v2, v5
	v_add_co_ci_u32_e64 v3, null, v3, v6, vcc_lo
	v_lshlrev_b32_e32 v5, 3, v0
	v_add_co_u32 v2, vcc_lo, v2, v7
	v_add_co_ci_u32_e64 v3, null, 0, v3, vcc_lo
	s_clause 0x3
	global_load_dwordx4 v[6:9], v[2:3], off
	global_load_dwordx4 v[10:13], v[2:3], off offset:512
	global_load_dwordx4 v[14:17], v[2:3], off offset:1024
	;; [unrolled: 1-line block ×3, first 2 shown]
	v_mad_u32_u24 v22, 0x480, v1, v5
	s_waitcnt vmcnt(3) lgkmcnt(0)
	v_fma_mixlo_f16 v6, s0, v6, 0
	v_fma_mixlo_f16 v7, s0, v7, 0
	;; [unrolled: 1-line block ×4, first 2 shown]
	s_waitcnt vmcnt(2)
	v_fma_mixlo_f16 v10, s0, v10, 0
	v_fma_mixlo_f16 v11, s0, v11, 0
	;; [unrolled: 1-line block ×4, first 2 shown]
	s_waitcnt vmcnt(1)
	v_fma_mixlo_f16 v14, s0, v14, 0
	v_fma_mixlo_f16 v15, s0, v15, 0
	s_waitcnt vmcnt(0)
	v_fma_mixlo_f16 v18, s0, v18, 0
	v_fma_mixlo_f16 v19, s0, v19, 0
	v_lshlrev_b32_e32 v7, 16, v7
	v_and_b32_e32 v6, 0xffff, v6
	v_lshlrev_b32_e32 v9, 16, v9
	v_and_b32_e32 v8, 0xffff, v8
	v_lshlrev_b32_e32 v11, 16, v11
	v_and_b32_e32 v10, 0xffff, v10
	v_fma_mixlo_f16 v16, s0, v16, 0
	v_fma_mixlo_f16 v17, s0, v17, 0
	v_fma_mixlo_f16 v20, s0, v20, 0
	v_fma_mixlo_f16 v21, s0, v21, 0
	v_lshlrev_b32_e32 v13, 16, v13
	v_and_b32_e32 v12, 0xffff, v12
	v_lshlrev_b32_e32 v15, 16, v15
	v_and_b32_e32 v14, 0xffff, v14
	;; [unrolled: 2-line block ×3, first 2 shown]
	v_or_b32_e32 v6, v7, v6
	v_or3_b32 v7, v9, v8, 0
	v_or_b32_e32 v8, v11, v10
	v_lshlrev_b32_e32 v17, 16, v17
	v_and_b32_e32 v16, 0xffff, v16
	v_lshlrev_b32_e32 v21, 16, v21
	v_and_b32_e32 v20, 0xffff, v20
	v_or3_b32 v9, v13, v12, 0
	v_or_b32_e32 v10, v15, v14
	v_or_b32_e32 v12, v19, v18
	v_or3_b32 v6, 0, 0, v6
	v_or3_b32 v8, 0, 0, v8
	;; [unrolled: 1-line block ×6, first 2 shown]
	ds_write2_b64 v22, v[6:7], v[8:9] offset1:32
	ds_write2_b64 v22, v[10:11], v[12:13] offset0:64 offset1:96
	v_cmpx_gt_u32_e32 16, v0
	s_cbranch_execz .LBB27_4
; %bb.3:
	v_add_co_u32 v2, vcc_lo, 0x800, v2
	v_add_co_ci_u32_e64 v3, null, 0, v3, vcc_lo
	global_load_dwordx4 v[6:9], v[2:3], off
	s_waitcnt vmcnt(0)
	v_fma_mixlo_f16 v2, s0, v7, 0
	v_fma_mixlo_f16 v3, s0, v6, 0
	;; [unrolled: 1-line block ×4, first 2 shown]
	v_lshlrev_b32_e32 v2, 16, v2
	v_and_b32_e32 v3, 0xffff, v3
	v_and_b32_e32 v6, 0xffff, v6
	v_lshlrev_b32_e32 v7, 16, v7
	v_or_b32_e32 v2, v2, v3
	v_or3_b32 v3, v7, v6, 0
	v_add_nc_u32_e32 v6, v44, v5
	v_or3_b32 v2, 0, 0, v2
	ds_write_b64 v6, v[2:3] offset:1024
.LBB27_4:
	s_or_b32 exec_lo, exec_lo, s1
	s_cmp_eq_u64 s[18:19], 0
	s_waitcnt lgkmcnt(0)
	s_barrier
	buffer_gl0_inv
	s_cbranch_scc1 .LBB27_6
; %bb.5:
	s_load_dword s0, s[4:5], 0xd0
	s_mov_b32 s1, 0
	s_waitcnt lgkmcnt(0)
	s_mul_i32 s0, s0, s7
	s_add_i32 s0, s0, s6
	s_lshl_b64 s[0:1], s[0:1], 2
	s_add_u32 s0, s18, s0
	s_addc_u32 s1, s19, s1
	s_load_dword s30, s[0:1], 0x0
.LBB27_6:
	v_lshlrev_b32_e32 v46, 2, v0
	v_mbcnt_lo_u32_b32 v47, -1, 0
	s_lshl_b32 s6, s28, 6
	s_waitcnt lgkmcnt(0)
	s_cmp_lt_i32 s6, s30
	s_cbranch_scc1 .LBB27_9
; %bb.7:
	v_mbcnt_lo_u32_b32 v3, -1, 0
	v_mov_b32_e32 v2, 32
	v_xor_b32_e32 v62, 16, v3
	v_xor_b32_e32 v61, 8, v3
	;; [unrolled: 1-line block ×5, first 2 shown]
	s_cbranch_execz .LBB27_10
; %bb.8:
	v_mov_b32_e32 v6, 0
	v_mov_b32_e32 v70, 0
	;; [unrolled: 1-line block ×10, first 2 shown]
	s_branch .LBB27_22
.LBB27_9:
                                        ; implicit-def: $vgpr3
                                        ; implicit-def: $vgpr2
                                        ; implicit-def: $vgpr62
                                        ; implicit-def: $vgpr61
                                        ; implicit-def: $vgpr63
                                        ; implicit-def: $vgpr64
                                        ; implicit-def: $vgpr65
.LBB27_10:
	s_clause 0x1
	s_load_dwordx4 s[24:27], s[4:5], 0x98
	s_load_dwordx2 s[0:1], s[4:5], 0x8c
	s_sub_i32 s8, 0, s31
	s_abs_i32 s14, s29
	s_mul_i32 s8, s8, s38
	s_ashr_i32 s36, s37, 1
	s_mul_hi_u32 s8, s38, s8
	s_ashr_i32 s15, s29, 31
	s_add_i32 s38, s38, s8
	s_ashr_i32 s33, s33, 31
	s_mul_hi_u32 s37, s14, s38
	s_ashr_i32 s38, s7, 31
	s_load_dwordx2 s[18:19], s[4:5], 0xa8
	s_mul_i32 s39, s37, s31
	v_lshrrev_b32_e32 v2, 3, v0
	v_and_b32_e32 v6, 28, v46
	v_lshlrev_b32_e32 v12, 2, v46
	v_lshl_add_u32 v51, v1, 7, 0x4800
	v_add_nc_u32_e32 v55, 0x2400, v5
	v_lshl_add_u32 v3, v1, 2, v2
	s_waitcnt lgkmcnt(0)
	s_ashr_i32 s8, s26, 2
	s_ashr_i32 s9, s0, 2
	s_mul_hi_u32 s0, s24, s7
	s_mul_i32 s26, s24, s38
	s_mul_i32 s25, s25, s7
	s_add_i32 s0, s0, s26
	s_mul_i32 s24, s24, s7
	s_add_i32 s0, s0, s25
	s_add_u32 s24, s10, s24
	s_addc_u32 s0, s11, s0
	s_sub_i32 s14, s14, s39
	s_xor_b32 s11, s15, s33
	s_add_i32 s15, s37, 1
	s_sub_i32 s25, s14, s31
	s_cmp_ge_u32 s14, s31
	v_lshlrev_b32_e32 v7, 2, v6
	s_cselect_b32 s15, s15, s37
	s_cselect_b32 s14, s25, s14
	s_add_i32 s25, s15, 1
	s_cmp_ge_u32 s14, s31
	v_mul_lo_u32 v8, s8, v1
	s_cselect_b32 s14, s25, s15
	v_mad_u32_u24 v9, 0x90, v3, v7
	s_xor_b32 s14, s14, s11
	v_mul_lo_u32 v2, s9, v3
	s_sub_i32 s25, s14, s11
	s_load_dword s10, s[4:5], 0x54
	s_mul_i32 s1, s25, s1
	v_add_nc_u32_e32 v48, 0x2400, v9
	v_add_nc_u32_e32 v49, 0x3600, v9
	v_ashrrev_i32_e32 v9, 31, v8
	s_mul_hi_u32 s15, s18, s7
	s_mul_i32 s26, s18, s38
	s_ashr_i32 s14, s1, 31
	s_add_u32 s11, s24, s1
	s_mul_i32 s19, s19, s7
	s_addc_u32 s14, s0, s14
	s_add_i32 s0, s15, s26
	s_mul_i32 s1, s18, s7
	v_lshlrev_b64 v[8:9], 2, v[8:9]
	s_add_i32 s0, s0, s19
	s_mul_i32 s25, s25, s27
	v_lshl_add_u32 v1, v1, 10, v12
	s_add_u32 s1, s12, s1
	v_lshl_add_u32 v10, s9, 5, v2
	s_addc_u32 s0, s13, s0
	s_ashr_i32 s12, s25, 31
	s_add_u32 s1, s1, s25
	s_addc_u32 s0, s0, s12
	v_mad_u64_u32 v[38:39], null, v4, s36, v[0:1]
	v_add_co_u32 v4, vcc_lo, s1, v8
	v_ashrrev_i32_e32 v3, 31, v2
	v_ashrrev_i32_e32 v11, 31, v10
	v_add_co_ci_u32_e64 v8, null, s0, v9, vcc_lo
	s_movk_i32 s12, 0x2400
	v_add_co_u32 v56, vcc_lo, v4, v12
	v_lshlrev_b64 v[39:40], 2, v[2:3]
	v_lshlrev_b64 v[41:42], 2, v[10:11]
	v_mov_b32_e32 v7, 0
	v_mad_u32_u24 v50, 0x90, v0, s12
	v_lshl_add_u32 v52, v0, 1, v51
	v_add_nc_u32_e32 v53, 0x2400, v1
	v_add_nc_u32_e32 v54, 0x2600, v1
	v_add_co_ci_u32_e64 v57, null, 0, v8, vcc_lo
	v_mov_b32_e32 v13, 0xfeffffff
	v_lshlrev_b32_e32 v58, 2, v6
	v_mov_b32_e32 v59, 0x10001
	v_mov_b32_e32 v8, 0
	;; [unrolled: 1-line block ×9, first 2 shown]
	s_add_u32 s0, s4, 0xd0
	s_addc_u32 s1, s5, 0
	s_mov_b32 s12, 0xbbbac73d
.LBB27_11:                              ; =>This Inner Loop Header: Depth=1
	s_mul_hi_i32 s19, s6, s9
	s_mul_i32 s18, s6, s9
	s_lshl_b64 s[18:19], s[18:19], 2
	s_add_u32 s13, s11, s18
	s_addc_u32 s15, s14, s19
	v_add_co_u32 v1, vcc_lo, s13, v39
	v_add_co_ci_u32_e64 v2, null, s15, v40, vcc_lo
	v_add_co_u32 v3, vcc_lo, s13, v41
	v_add_co_ci_u32_e64 v4, null, s15, v42, vcc_lo
	v_add_co_u32 v1, vcc_lo, v1, v58
	v_add_co_ci_u32_e64 v2, null, 0, v2, vcc_lo
	v_add_co_u32 v3, vcc_lo, v3, v58
	v_add_co_ci_u32_e64 v4, null, 0, v4, vcc_lo
	s_clause 0x1
	global_load_dwordx4 v[14:17], v[1:2], off
	global_load_dwordx4 v[18:21], v[3:4], off
	s_waitcnt vmcnt(1)
	ds_write_b128 v48, v[14:17]
	s_waitcnt vmcnt(0)
	ds_write_b128 v49, v[18:21]
	s_waitcnt lgkmcnt(0)
	s_barrier
	buffer_gl0_inv
	ds_read_b128 v[16:19], v50
	ds_read_b128 v[20:23], v44
	ds_read_b128 v[24:27], v50 offset:4608
	v_mov_b32_e32 v14, 0
	v_mov_b32_e32 v15, 0
	s_waitcnt lgkmcnt(1)
	;;#ASMSTART
	v_dot2_f32_f16 v14, v16, v20, v14
	;;#ASMEND
	;;#ASMSTART
	v_dot2_f32_f16 v14, v17, v21, v14
	;;#ASMEND
	;;#ASMSTART
	v_dot2_f32_f16 v14, v18, v22, v14
	;;#ASMEND
	;;#ASMSTART
	v_dot2_f32_f16 v14, v19, v23, v14
	;;#ASMEND
	s_waitcnt lgkmcnt(0)
	;;#ASMSTART
	v_dot2_f32_f16 v15, v24, v20, v15
	;;#ASMEND
	;;#ASMSTART
	v_dot2_f32_f16 v15, v25, v21, v15
	;;#ASMEND
	;;#ASMSTART
	v_dot2_f32_f16 v15, v26, v22, v15
	;;#ASMEND
	;;#ASMSTART
	v_dot2_f32_f16 v15, v27, v23, v15
	;;#ASMEND
	ds_read_b128 v[16:19], v50 offset:16
	ds_read_b128 v[20:23], v44 offset:16
	ds_read_b128 v[24:27], v50 offset:4624
	s_waitcnt lgkmcnt(1)
	;;#ASMSTART
	v_dot2_f32_f16 v14, v16, v20, v14
	;;#ASMEND
	;;#ASMSTART
	v_dot2_f32_f16 v14, v17, v21, v14
	;;#ASMEND
	;;#ASMSTART
	v_dot2_f32_f16 v14, v18, v22, v14
	;;#ASMEND
	;;#ASMSTART
	v_dot2_f32_f16 v14, v19, v23, v14
	;;#ASMEND
	s_waitcnt lgkmcnt(0)
	;;#ASMSTART
	v_dot2_f32_f16 v15, v24, v20, v15
	;;#ASMEND
	;;#ASMSTART
	v_dot2_f32_f16 v15, v25, v21, v15
	;;#ASMEND
	;;#ASMSTART
	v_dot2_f32_f16 v15, v26, v22, v15
	;;#ASMEND
	;;#ASMSTART
	v_dot2_f32_f16 v15, v27, v23, v15
	;;#ASMEND
	ds_read_b128 v[16:19], v50 offset:32
	ds_read_b128 v[20:23], v44 offset:32
	ds_read_b128 v[24:27], v50 offset:4640
	;; [unrolled: 29-line block ×7, first 2 shown]
	s_waitcnt lgkmcnt(1)
	;;#ASMSTART
	v_dot2_f32_f16 v14, v16, v20, v14
	;;#ASMEND
	;;#ASMSTART
	v_dot2_f32_f16 v14, v17, v21, v14
	;;#ASMEND
	;; [unrolled: 3-line block ×4, first 2 shown]
	s_waitcnt lgkmcnt(0)
	;;#ASMSTART
	v_dot2_f32_f16 v15, v24, v20, v15
	;;#ASMEND
	;;#ASMSTART
	v_dot2_f32_f16 v15, v25, v21, v15
	;;#ASMEND
	;; [unrolled: 3-line block ×4, first 2 shown]
	s_barrier
	buffer_gl0_inv
	s_clause 0x1
	global_load_dwordx4 v[16:19], v[1:2], off offset:128
	global_load_dwordx4 v[20:23], v[3:4], off offset:128
	s_waitcnt vmcnt(1)
	ds_write_b128 v48, v[16:19]
	s_waitcnt vmcnt(0)
	ds_write_b128 v49, v[20:23]
	s_waitcnt lgkmcnt(0)
	s_barrier
	buffer_gl0_inv
	ds_read_b128 v[16:19], v50
	ds_read_b128 v[20:23], v44 offset:128
	ds_read_b128 v[24:27], v50 offset:4608
	s_waitcnt lgkmcnt(1)
	;;#ASMSTART
	v_dot2_f32_f16 v14, v16, v20, v14
	;;#ASMEND
	;;#ASMSTART
	v_dot2_f32_f16 v14, v17, v21, v14
	;;#ASMEND
	;;#ASMSTART
	v_dot2_f32_f16 v14, v18, v22, v14
	;;#ASMEND
	;;#ASMSTART
	v_dot2_f32_f16 v14, v19, v23, v14
	;;#ASMEND
	s_waitcnt lgkmcnt(0)
	;;#ASMSTART
	v_dot2_f32_f16 v15, v24, v20, v15
	;;#ASMEND
	;;#ASMSTART
	v_dot2_f32_f16 v15, v25, v21, v15
	;;#ASMEND
	;;#ASMSTART
	v_dot2_f32_f16 v15, v26, v22, v15
	;;#ASMEND
	;;#ASMSTART
	v_dot2_f32_f16 v15, v27, v23, v15
	;;#ASMEND
	ds_read_b128 v[16:19], v50 offset:16
	ds_read_b128 v[20:23], v44 offset:144
	ds_read_b128 v[24:27], v50 offset:4624
	s_waitcnt lgkmcnt(1)
	;;#ASMSTART
	v_dot2_f32_f16 v14, v16, v20, v14
	;;#ASMEND
	;;#ASMSTART
	v_dot2_f32_f16 v14, v17, v21, v14
	;;#ASMEND
	;;#ASMSTART
	v_dot2_f32_f16 v14, v18, v22, v14
	;;#ASMEND
	;;#ASMSTART
	v_dot2_f32_f16 v14, v19, v23, v14
	;;#ASMEND
	s_waitcnt lgkmcnt(0)
	;;#ASMSTART
	v_dot2_f32_f16 v15, v24, v20, v15
	;;#ASMEND
	;;#ASMSTART
	v_dot2_f32_f16 v15, v25, v21, v15
	;;#ASMEND
	;;#ASMSTART
	v_dot2_f32_f16 v15, v26, v22, v15
	;;#ASMEND
	;;#ASMSTART
	v_dot2_f32_f16 v15, v27, v23, v15
	;;#ASMEND
	ds_read_b128 v[16:19], v50 offset:32
	;; [unrolled: 29-line block ×7, first 2 shown]
	ds_read_b128 v[20:23], v44 offset:240
	ds_read_b128 v[24:27], v50 offset:4720
	s_waitcnt lgkmcnt(1)
	;;#ASMSTART
	v_dot2_f32_f16 v14, v16, v20, v14
	;;#ASMEND
	;;#ASMSTART
	v_dot2_f32_f16 v14, v17, v21, v14
	;;#ASMEND
	;; [unrolled: 3-line block ×4, first 2 shown]
	s_waitcnt lgkmcnt(0)
	;;#ASMSTART
	v_dot2_f32_f16 v15, v24, v20, v15
	;;#ASMEND
	;;#ASMSTART
	v_dot2_f32_f16 v15, v25, v21, v15
	;;#ASMEND
	;; [unrolled: 3-line block ×4, first 2 shown]
	s_barrier
	buffer_gl0_inv
	s_clause 0x1
	global_load_dwordx4 v[16:19], v[1:2], off offset:256
	global_load_dwordx4 v[20:23], v[3:4], off offset:256
	s_waitcnt vmcnt(1)
	ds_write_b128 v48, v[16:19]
	s_waitcnt vmcnt(0)
	ds_write_b128 v49, v[20:23]
	s_waitcnt lgkmcnt(0)
	s_barrier
	buffer_gl0_inv
	ds_read_b128 v[16:19], v50
	ds_read_b128 v[20:23], v44 offset:256
	ds_read_b128 v[24:27], v50 offset:4608
	s_waitcnt lgkmcnt(1)
	;;#ASMSTART
	v_dot2_f32_f16 v14, v16, v20, v14
	;;#ASMEND
	;;#ASMSTART
	v_dot2_f32_f16 v14, v17, v21, v14
	;;#ASMEND
	;;#ASMSTART
	v_dot2_f32_f16 v14, v18, v22, v14
	;;#ASMEND
	;;#ASMSTART
	v_dot2_f32_f16 v14, v19, v23, v14
	;;#ASMEND
	s_waitcnt lgkmcnt(0)
	;;#ASMSTART
	v_dot2_f32_f16 v15, v24, v20, v15
	;;#ASMEND
	;;#ASMSTART
	v_dot2_f32_f16 v15, v25, v21, v15
	;;#ASMEND
	;;#ASMSTART
	v_dot2_f32_f16 v15, v26, v22, v15
	;;#ASMEND
	;;#ASMSTART
	v_dot2_f32_f16 v15, v27, v23, v15
	;;#ASMEND
	ds_read_b128 v[16:19], v50 offset:16
	ds_read_b128 v[20:23], v44 offset:272
	ds_read_b128 v[24:27], v50 offset:4624
	s_waitcnt lgkmcnt(1)
	;;#ASMSTART
	v_dot2_f32_f16 v14, v16, v20, v14
	;;#ASMEND
	;;#ASMSTART
	v_dot2_f32_f16 v14, v17, v21, v14
	;;#ASMEND
	;;#ASMSTART
	v_dot2_f32_f16 v14, v18, v22, v14
	;;#ASMEND
	;;#ASMSTART
	v_dot2_f32_f16 v14, v19, v23, v14
	;;#ASMEND
	s_waitcnt lgkmcnt(0)
	;;#ASMSTART
	v_dot2_f32_f16 v15, v24, v20, v15
	;;#ASMEND
	;;#ASMSTART
	v_dot2_f32_f16 v15, v25, v21, v15
	;;#ASMEND
	;;#ASMSTART
	v_dot2_f32_f16 v15, v26, v22, v15
	;;#ASMEND
	;;#ASMSTART
	v_dot2_f32_f16 v15, v27, v23, v15
	;;#ASMEND
	ds_read_b128 v[16:19], v50 offset:32
	ds_read_b128 v[20:23], v44 offset:288
	ds_read_b128 v[24:27], v50 offset:4640
	s_waitcnt lgkmcnt(1)
	;;#ASMSTART
	v_dot2_f32_f16 v14, v16, v20, v14
	;;#ASMEND
	;;#ASMSTART
	v_dot2_f32_f16 v14, v17, v21, v14
	;;#ASMEND
	;;#ASMSTART
	v_dot2_f32_f16 v14, v18, v22, v14
	;;#ASMEND
	;;#ASMSTART
	v_dot2_f32_f16 v14, v19, v23, v14
	;;#ASMEND
	s_waitcnt lgkmcnt(0)
	;;#ASMSTART
	v_dot2_f32_f16 v15, v24, v20, v15
	;;#ASMEND
	;;#ASMSTART
	v_dot2_f32_f16 v15, v25, v21, v15
	;;#ASMEND
	;;#ASMSTART
	v_dot2_f32_f16 v15, v26, v22, v15
	;;#ASMEND
	;;#ASMSTART
	v_dot2_f32_f16 v15, v27, v23, v15
	;;#ASMEND
	ds_read_b128 v[16:19], v50 offset:48
	ds_read_b128 v[20:23], v44 offset:304
	ds_read_b128 v[24:27], v50 offset:4656
	s_waitcnt lgkmcnt(1)
	;;#ASMSTART
	v_dot2_f32_f16 v14, v16, v20, v14
	;;#ASMEND
	;;#ASMSTART
	v_dot2_f32_f16 v14, v17, v21, v14
	;;#ASMEND
	;;#ASMSTART
	v_dot2_f32_f16 v14, v18, v22, v14
	;;#ASMEND
	;;#ASMSTART
	v_dot2_f32_f16 v14, v19, v23, v14
	;;#ASMEND
	s_waitcnt lgkmcnt(0)
	;;#ASMSTART
	v_dot2_f32_f16 v15, v24, v20, v15
	;;#ASMEND
	;;#ASMSTART
	v_dot2_f32_f16 v15, v25, v21, v15
	;;#ASMEND
	;;#ASMSTART
	v_dot2_f32_f16 v15, v26, v22, v15
	;;#ASMEND
	;;#ASMSTART
	v_dot2_f32_f16 v15, v27, v23, v15
	;;#ASMEND
	ds_read_b128 v[16:19], v50 offset:64
	ds_read_b128 v[20:23], v44 offset:320
	ds_read_b128 v[24:27], v50 offset:4672
	s_waitcnt lgkmcnt(1)
	;;#ASMSTART
	v_dot2_f32_f16 v14, v16, v20, v14
	;;#ASMEND
	;;#ASMSTART
	v_dot2_f32_f16 v14, v17, v21, v14
	;;#ASMEND
	;;#ASMSTART
	v_dot2_f32_f16 v14, v18, v22, v14
	;;#ASMEND
	;;#ASMSTART
	v_dot2_f32_f16 v14, v19, v23, v14
	;;#ASMEND
	s_waitcnt lgkmcnt(0)
	;;#ASMSTART
	v_dot2_f32_f16 v15, v24, v20, v15
	;;#ASMEND
	;;#ASMSTART
	v_dot2_f32_f16 v15, v25, v21, v15
	;;#ASMEND
	;;#ASMSTART
	v_dot2_f32_f16 v15, v26, v22, v15
	;;#ASMEND
	;;#ASMSTART
	v_dot2_f32_f16 v15, v27, v23, v15
	;;#ASMEND
	ds_read_b128 v[16:19], v50 offset:80
	ds_read_b128 v[20:23], v44 offset:336
	ds_read_b128 v[24:27], v50 offset:4688
	s_waitcnt lgkmcnt(1)
	;;#ASMSTART
	v_dot2_f32_f16 v14, v16, v20, v14
	;;#ASMEND
	;;#ASMSTART
	v_dot2_f32_f16 v14, v17, v21, v14
	;;#ASMEND
	;;#ASMSTART
	v_dot2_f32_f16 v14, v18, v22, v14
	;;#ASMEND
	;;#ASMSTART
	v_dot2_f32_f16 v14, v19, v23, v14
	;;#ASMEND
	s_waitcnt lgkmcnt(0)
	;;#ASMSTART
	v_dot2_f32_f16 v15, v24, v20, v15
	;;#ASMEND
	;;#ASMSTART
	v_dot2_f32_f16 v15, v25, v21, v15
	;;#ASMEND
	;;#ASMSTART
	v_dot2_f32_f16 v15, v26, v22, v15
	;;#ASMEND
	;;#ASMSTART
	v_dot2_f32_f16 v15, v27, v23, v15
	;;#ASMEND
	ds_read_b128 v[16:19], v50 offset:96
	ds_read_b128 v[20:23], v44 offset:352
	ds_read_b128 v[24:27], v50 offset:4704
	s_waitcnt lgkmcnt(1)
	;;#ASMSTART
	v_dot2_f32_f16 v14, v16, v20, v14
	;;#ASMEND
	;;#ASMSTART
	v_dot2_f32_f16 v14, v17, v21, v14
	;;#ASMEND
	;;#ASMSTART
	v_dot2_f32_f16 v14, v18, v22, v14
	;;#ASMEND
	;;#ASMSTART
	v_dot2_f32_f16 v14, v19, v23, v14
	;;#ASMEND
	s_waitcnt lgkmcnt(0)
	;;#ASMSTART
	v_dot2_f32_f16 v15, v24, v20, v15
	;;#ASMEND
	;;#ASMSTART
	v_dot2_f32_f16 v15, v25, v21, v15
	;;#ASMEND
	;;#ASMSTART
	v_dot2_f32_f16 v15, v26, v22, v15
	;;#ASMEND
	;;#ASMSTART
	v_dot2_f32_f16 v15, v27, v23, v15
	;;#ASMEND
	ds_read_b128 v[16:19], v50 offset:112
	ds_read_b128 v[20:23], v44 offset:368
	ds_read_b128 v[24:27], v50 offset:4720
	s_waitcnt lgkmcnt(1)
	;;#ASMSTART
	v_dot2_f32_f16 v14, v16, v20, v14
	;;#ASMEND
	;;#ASMSTART
	v_dot2_f32_f16 v14, v17, v21, v14
	;;#ASMEND
	;; [unrolled: 3-line block ×4, first 2 shown]
	s_waitcnt lgkmcnt(0)
	;;#ASMSTART
	v_dot2_f32_f16 v15, v24, v20, v15
	;;#ASMEND
	;;#ASMSTART
	v_dot2_f32_f16 v15, v25, v21, v15
	;;#ASMEND
	;; [unrolled: 3-line block ×4, first 2 shown]
	s_barrier
	buffer_gl0_inv
	s_clause 0x1
	global_load_dwordx4 v[16:19], v[1:2], off offset:384
	global_load_dwordx4 v[20:23], v[3:4], off offset:384
	s_waitcnt vmcnt(1)
	ds_write_b128 v48, v[16:19]
	s_waitcnt vmcnt(0)
	ds_write_b128 v49, v[20:23]
	s_waitcnt lgkmcnt(0)
	s_barrier
	buffer_gl0_inv
	ds_read_b128 v[16:19], v50
	ds_read_b128 v[20:23], v44 offset:384
	ds_read_b128 v[24:27], v50 offset:4608
	s_waitcnt lgkmcnt(1)
	;;#ASMSTART
	v_dot2_f32_f16 v14, v16, v20, v14
	;;#ASMEND
	;;#ASMSTART
	v_dot2_f32_f16 v14, v17, v21, v14
	;;#ASMEND
	;;#ASMSTART
	v_dot2_f32_f16 v14, v18, v22, v14
	;;#ASMEND
	;;#ASMSTART
	v_dot2_f32_f16 v14, v19, v23, v14
	;;#ASMEND
	s_waitcnt lgkmcnt(0)
	;;#ASMSTART
	v_dot2_f32_f16 v15, v24, v20, v15
	;;#ASMEND
	;;#ASMSTART
	v_dot2_f32_f16 v15, v25, v21, v15
	;;#ASMEND
	;;#ASMSTART
	v_dot2_f32_f16 v15, v26, v22, v15
	;;#ASMEND
	;;#ASMSTART
	v_dot2_f32_f16 v15, v27, v23, v15
	;;#ASMEND
	ds_read_b128 v[16:19], v50 offset:16
	ds_read_b128 v[20:23], v44 offset:400
	ds_read_b128 v[24:27], v50 offset:4624
	s_waitcnt lgkmcnt(1)
	;;#ASMSTART
	v_dot2_f32_f16 v14, v16, v20, v14
	;;#ASMEND
	;;#ASMSTART
	v_dot2_f32_f16 v14, v17, v21, v14
	;;#ASMEND
	;;#ASMSTART
	v_dot2_f32_f16 v14, v18, v22, v14
	;;#ASMEND
	;;#ASMSTART
	v_dot2_f32_f16 v14, v19, v23, v14
	;;#ASMEND
	s_waitcnt lgkmcnt(0)
	;;#ASMSTART
	v_dot2_f32_f16 v15, v24, v20, v15
	;;#ASMEND
	;;#ASMSTART
	v_dot2_f32_f16 v15, v25, v21, v15
	;;#ASMEND
	;;#ASMSTART
	v_dot2_f32_f16 v15, v26, v22, v15
	;;#ASMEND
	;;#ASMSTART
	v_dot2_f32_f16 v15, v27, v23, v15
	;;#ASMEND
	ds_read_b128 v[16:19], v50 offset:32
	;; [unrolled: 29-line block ×7, first 2 shown]
	ds_read_b128 v[20:23], v44 offset:496
	ds_read_b128 v[24:27], v50 offset:4720
	s_waitcnt lgkmcnt(1)
	;;#ASMSTART
	v_dot2_f32_f16 v14, v16, v20, v14
	;;#ASMEND
	;;#ASMSTART
	v_dot2_f32_f16 v14, v17, v21, v14
	;;#ASMEND
	;; [unrolled: 3-line block ×4, first 2 shown]
	s_waitcnt lgkmcnt(0)
	;;#ASMSTART
	v_dot2_f32_f16 v15, v24, v20, v15
	;;#ASMEND
	;;#ASMSTART
	v_dot2_f32_f16 v15, v25, v21, v15
	;;#ASMEND
	;;#ASMSTART
	v_dot2_f32_f16 v15, v26, v22, v15
	;;#ASMEND
	;;#ASMSTART
	v_dot2_f32_f16 v15, v27, v23, v15
	;;#ASMEND
	s_barrier
	buffer_gl0_inv
	s_clause 0x1
	global_load_dwordx4 v[16:19], v[1:2], off offset:512
	global_load_dwordx4 v[20:23], v[3:4], off offset:512
	s_waitcnt vmcnt(1)
	ds_write_b128 v48, v[16:19]
	s_waitcnt vmcnt(0)
	ds_write_b128 v49, v[20:23]
	s_waitcnt lgkmcnt(0)
	s_barrier
	buffer_gl0_inv
	ds_read_b128 v[16:19], v50
	ds_read_b128 v[20:23], v44 offset:512
	ds_read_b128 v[24:27], v50 offset:4608
	s_waitcnt lgkmcnt(1)
	;;#ASMSTART
	v_dot2_f32_f16 v14, v16, v20, v14
	;;#ASMEND
	;;#ASMSTART
	v_dot2_f32_f16 v14, v17, v21, v14
	;;#ASMEND
	;;#ASMSTART
	v_dot2_f32_f16 v14, v18, v22, v14
	;;#ASMEND
	;;#ASMSTART
	v_dot2_f32_f16 v14, v19, v23, v14
	;;#ASMEND
	s_waitcnt lgkmcnt(0)
	;;#ASMSTART
	v_dot2_f32_f16 v15, v24, v20, v15
	;;#ASMEND
	;;#ASMSTART
	v_dot2_f32_f16 v15, v25, v21, v15
	;;#ASMEND
	;;#ASMSTART
	v_dot2_f32_f16 v15, v26, v22, v15
	;;#ASMEND
	;;#ASMSTART
	v_dot2_f32_f16 v15, v27, v23, v15
	;;#ASMEND
	ds_read_b128 v[16:19], v50 offset:16
	ds_read_b128 v[20:23], v44 offset:528
	ds_read_b128 v[24:27], v50 offset:4624
	s_waitcnt lgkmcnt(1)
	;;#ASMSTART
	v_dot2_f32_f16 v14, v16, v20, v14
	;;#ASMEND
	;;#ASMSTART
	v_dot2_f32_f16 v14, v17, v21, v14
	;;#ASMEND
	;;#ASMSTART
	v_dot2_f32_f16 v14, v18, v22, v14
	;;#ASMEND
	;;#ASMSTART
	v_dot2_f32_f16 v14, v19, v23, v14
	;;#ASMEND
	s_waitcnt lgkmcnt(0)
	;;#ASMSTART
	v_dot2_f32_f16 v15, v24, v20, v15
	;;#ASMEND
	;;#ASMSTART
	v_dot2_f32_f16 v15, v25, v21, v15
	;;#ASMEND
	;;#ASMSTART
	v_dot2_f32_f16 v15, v26, v22, v15
	;;#ASMEND
	;;#ASMSTART
	v_dot2_f32_f16 v15, v27, v23, v15
	;;#ASMEND
	ds_read_b128 v[16:19], v50 offset:32
	ds_read_b128 v[20:23], v44 offset:544
	ds_read_b128 v[24:27], v50 offset:4640
	s_waitcnt lgkmcnt(1)
	;;#ASMSTART
	v_dot2_f32_f16 v14, v16, v20, v14
	;;#ASMEND
	;;#ASMSTART
	v_dot2_f32_f16 v14, v17, v21, v14
	;;#ASMEND
	;;#ASMSTART
	v_dot2_f32_f16 v14, v18, v22, v14
	;;#ASMEND
	;;#ASMSTART
	v_dot2_f32_f16 v14, v19, v23, v14
	;;#ASMEND
	s_waitcnt lgkmcnt(0)
	;;#ASMSTART
	v_dot2_f32_f16 v15, v24, v20, v15
	;;#ASMEND
	;;#ASMSTART
	v_dot2_f32_f16 v15, v25, v21, v15
	;;#ASMEND
	;;#ASMSTART
	v_dot2_f32_f16 v15, v26, v22, v15
	;;#ASMEND
	;;#ASMSTART
	v_dot2_f32_f16 v15, v27, v23, v15
	;;#ASMEND
	ds_read_b128 v[16:19], v50 offset:48
	ds_read_b128 v[20:23], v44 offset:560
	ds_read_b128 v[24:27], v50 offset:4656
	s_waitcnt lgkmcnt(1)
	;;#ASMSTART
	v_dot2_f32_f16 v14, v16, v20, v14
	;;#ASMEND
	;;#ASMSTART
	v_dot2_f32_f16 v14, v17, v21, v14
	;;#ASMEND
	;;#ASMSTART
	v_dot2_f32_f16 v14, v18, v22, v14
	;;#ASMEND
	;;#ASMSTART
	v_dot2_f32_f16 v14, v19, v23, v14
	;;#ASMEND
	s_waitcnt lgkmcnt(0)
	;;#ASMSTART
	v_dot2_f32_f16 v15, v24, v20, v15
	;;#ASMEND
	;;#ASMSTART
	v_dot2_f32_f16 v15, v25, v21, v15
	;;#ASMEND
	;;#ASMSTART
	v_dot2_f32_f16 v15, v26, v22, v15
	;;#ASMEND
	;;#ASMSTART
	v_dot2_f32_f16 v15, v27, v23, v15
	;;#ASMEND
	ds_read_b128 v[16:19], v50 offset:64
	ds_read_b128 v[20:23], v44 offset:576
	ds_read_b128 v[24:27], v50 offset:4672
	s_waitcnt lgkmcnt(1)
	;;#ASMSTART
	v_dot2_f32_f16 v14, v16, v20, v14
	;;#ASMEND
	;;#ASMSTART
	v_dot2_f32_f16 v14, v17, v21, v14
	;;#ASMEND
	;;#ASMSTART
	v_dot2_f32_f16 v14, v18, v22, v14
	;;#ASMEND
	;;#ASMSTART
	v_dot2_f32_f16 v14, v19, v23, v14
	;;#ASMEND
	s_waitcnt lgkmcnt(0)
	;;#ASMSTART
	v_dot2_f32_f16 v15, v24, v20, v15
	;;#ASMEND
	;;#ASMSTART
	v_dot2_f32_f16 v15, v25, v21, v15
	;;#ASMEND
	;;#ASMSTART
	v_dot2_f32_f16 v15, v26, v22, v15
	;;#ASMEND
	;;#ASMSTART
	v_dot2_f32_f16 v15, v27, v23, v15
	;;#ASMEND
	ds_read_b128 v[16:19], v50 offset:80
	ds_read_b128 v[20:23], v44 offset:592
	ds_read_b128 v[24:27], v50 offset:4688
	s_waitcnt lgkmcnt(1)
	;;#ASMSTART
	v_dot2_f32_f16 v14, v16, v20, v14
	;;#ASMEND
	;;#ASMSTART
	v_dot2_f32_f16 v14, v17, v21, v14
	;;#ASMEND
	;;#ASMSTART
	v_dot2_f32_f16 v14, v18, v22, v14
	;;#ASMEND
	;;#ASMSTART
	v_dot2_f32_f16 v14, v19, v23, v14
	;;#ASMEND
	s_waitcnt lgkmcnt(0)
	;;#ASMSTART
	v_dot2_f32_f16 v15, v24, v20, v15
	;;#ASMEND
	;;#ASMSTART
	v_dot2_f32_f16 v15, v25, v21, v15
	;;#ASMEND
	;;#ASMSTART
	v_dot2_f32_f16 v15, v26, v22, v15
	;;#ASMEND
	;;#ASMSTART
	v_dot2_f32_f16 v15, v27, v23, v15
	;;#ASMEND
	ds_read_b128 v[16:19], v50 offset:96
	ds_read_b128 v[20:23], v44 offset:608
	ds_read_b128 v[24:27], v50 offset:4704
	s_waitcnt lgkmcnt(1)
	;;#ASMSTART
	v_dot2_f32_f16 v14, v16, v20, v14
	;;#ASMEND
	;;#ASMSTART
	v_dot2_f32_f16 v14, v17, v21, v14
	;;#ASMEND
	;;#ASMSTART
	v_dot2_f32_f16 v14, v18, v22, v14
	;;#ASMEND
	;;#ASMSTART
	v_dot2_f32_f16 v14, v19, v23, v14
	;;#ASMEND
	s_waitcnt lgkmcnt(0)
	;;#ASMSTART
	v_dot2_f32_f16 v15, v24, v20, v15
	;;#ASMEND
	;;#ASMSTART
	v_dot2_f32_f16 v15, v25, v21, v15
	;;#ASMEND
	;;#ASMSTART
	v_dot2_f32_f16 v15, v26, v22, v15
	;;#ASMEND
	;;#ASMSTART
	v_dot2_f32_f16 v15, v27, v23, v15
	;;#ASMEND
	ds_read_b128 v[16:19], v50 offset:112
	ds_read_b128 v[20:23], v44 offset:624
	ds_read_b128 v[24:27], v50 offset:4720
	s_waitcnt lgkmcnt(1)
	;;#ASMSTART
	v_dot2_f32_f16 v14, v16, v20, v14
	;;#ASMEND
	;;#ASMSTART
	v_dot2_f32_f16 v14, v17, v21, v14
	;;#ASMEND
	;; [unrolled: 3-line block ×4, first 2 shown]
	s_waitcnt lgkmcnt(0)
	;;#ASMSTART
	v_dot2_f32_f16 v15, v24, v20, v15
	;;#ASMEND
	;;#ASMSTART
	v_dot2_f32_f16 v15, v25, v21, v15
	;;#ASMEND
	;; [unrolled: 3-line block ×4, first 2 shown]
	s_barrier
	buffer_gl0_inv
	s_clause 0x1
	global_load_dwordx4 v[16:19], v[1:2], off offset:640
	global_load_dwordx4 v[20:23], v[3:4], off offset:640
	s_waitcnt vmcnt(1)
	ds_write_b128 v48, v[16:19]
	s_waitcnt vmcnt(0)
	ds_write_b128 v49, v[20:23]
	s_waitcnt lgkmcnt(0)
	s_barrier
	buffer_gl0_inv
	ds_read_b128 v[16:19], v50
	ds_read_b128 v[20:23], v44 offset:640
	ds_read_b128 v[24:27], v50 offset:4608
	s_waitcnt lgkmcnt(1)
	;;#ASMSTART
	v_dot2_f32_f16 v14, v16, v20, v14
	;;#ASMEND
	;;#ASMSTART
	v_dot2_f32_f16 v14, v17, v21, v14
	;;#ASMEND
	;;#ASMSTART
	v_dot2_f32_f16 v14, v18, v22, v14
	;;#ASMEND
	;;#ASMSTART
	v_dot2_f32_f16 v14, v19, v23, v14
	;;#ASMEND
	s_waitcnt lgkmcnt(0)
	;;#ASMSTART
	v_dot2_f32_f16 v15, v24, v20, v15
	;;#ASMEND
	;;#ASMSTART
	v_dot2_f32_f16 v15, v25, v21, v15
	;;#ASMEND
	;;#ASMSTART
	v_dot2_f32_f16 v15, v26, v22, v15
	;;#ASMEND
	;;#ASMSTART
	v_dot2_f32_f16 v15, v27, v23, v15
	;;#ASMEND
	ds_read_b128 v[16:19], v50 offset:16
	ds_read_b128 v[20:23], v44 offset:656
	ds_read_b128 v[24:27], v50 offset:4624
	s_waitcnt lgkmcnt(1)
	;;#ASMSTART
	v_dot2_f32_f16 v14, v16, v20, v14
	;;#ASMEND
	;;#ASMSTART
	v_dot2_f32_f16 v14, v17, v21, v14
	;;#ASMEND
	;;#ASMSTART
	v_dot2_f32_f16 v14, v18, v22, v14
	;;#ASMEND
	;;#ASMSTART
	v_dot2_f32_f16 v14, v19, v23, v14
	;;#ASMEND
	s_waitcnt lgkmcnt(0)
	;;#ASMSTART
	v_dot2_f32_f16 v15, v24, v20, v15
	;;#ASMEND
	;;#ASMSTART
	v_dot2_f32_f16 v15, v25, v21, v15
	;;#ASMEND
	;;#ASMSTART
	v_dot2_f32_f16 v15, v26, v22, v15
	;;#ASMEND
	;;#ASMSTART
	v_dot2_f32_f16 v15, v27, v23, v15
	;;#ASMEND
	ds_read_b128 v[16:19], v50 offset:32
	;; [unrolled: 29-line block ×7, first 2 shown]
	ds_read_b128 v[20:23], v44 offset:752
	ds_read_b128 v[24:27], v50 offset:4720
	s_waitcnt lgkmcnt(1)
	;;#ASMSTART
	v_dot2_f32_f16 v14, v16, v20, v14
	;;#ASMEND
	;;#ASMSTART
	v_dot2_f32_f16 v14, v17, v21, v14
	;;#ASMEND
	;; [unrolled: 3-line block ×4, first 2 shown]
	s_waitcnt lgkmcnt(0)
	;;#ASMSTART
	v_dot2_f32_f16 v15, v24, v20, v15
	;;#ASMEND
	;;#ASMSTART
	v_dot2_f32_f16 v15, v25, v21, v15
	;;#ASMEND
	;;#ASMSTART
	v_dot2_f32_f16 v15, v26, v22, v15
	;;#ASMEND
	;;#ASMSTART
	v_dot2_f32_f16 v15, v27, v23, v15
	;;#ASMEND
	s_barrier
	buffer_gl0_inv
	s_clause 0x1
	global_load_dwordx4 v[16:19], v[1:2], off offset:768
	global_load_dwordx4 v[20:23], v[3:4], off offset:768
	s_waitcnt vmcnt(1)
	ds_write_b128 v48, v[16:19]
	s_waitcnt vmcnt(0)
	ds_write_b128 v49, v[20:23]
	s_waitcnt lgkmcnt(0)
	s_barrier
	buffer_gl0_inv
	ds_read_b128 v[16:19], v50
	ds_read_b128 v[20:23], v44 offset:768
	ds_read_b128 v[24:27], v50 offset:4608
	s_waitcnt lgkmcnt(1)
	;;#ASMSTART
	v_dot2_f32_f16 v14, v16, v20, v14
	;;#ASMEND
	;;#ASMSTART
	v_dot2_f32_f16 v14, v17, v21, v14
	;;#ASMEND
	;;#ASMSTART
	v_dot2_f32_f16 v14, v18, v22, v14
	;;#ASMEND
	;;#ASMSTART
	v_dot2_f32_f16 v14, v19, v23, v14
	;;#ASMEND
	s_waitcnt lgkmcnt(0)
	;;#ASMSTART
	v_dot2_f32_f16 v15, v24, v20, v15
	;;#ASMEND
	;;#ASMSTART
	v_dot2_f32_f16 v15, v25, v21, v15
	;;#ASMEND
	;;#ASMSTART
	v_dot2_f32_f16 v15, v26, v22, v15
	;;#ASMEND
	;;#ASMSTART
	v_dot2_f32_f16 v15, v27, v23, v15
	;;#ASMEND
	ds_read_b128 v[16:19], v50 offset:16
	ds_read_b128 v[20:23], v44 offset:784
	ds_read_b128 v[24:27], v50 offset:4624
	s_waitcnt lgkmcnt(1)
	;;#ASMSTART
	v_dot2_f32_f16 v14, v16, v20, v14
	;;#ASMEND
	;;#ASMSTART
	v_dot2_f32_f16 v14, v17, v21, v14
	;;#ASMEND
	;;#ASMSTART
	v_dot2_f32_f16 v14, v18, v22, v14
	;;#ASMEND
	;;#ASMSTART
	v_dot2_f32_f16 v14, v19, v23, v14
	;;#ASMEND
	s_waitcnt lgkmcnt(0)
	;;#ASMSTART
	v_dot2_f32_f16 v15, v24, v20, v15
	;;#ASMEND
	;;#ASMSTART
	v_dot2_f32_f16 v15, v25, v21, v15
	;;#ASMEND
	;;#ASMSTART
	v_dot2_f32_f16 v15, v26, v22, v15
	;;#ASMEND
	;;#ASMSTART
	v_dot2_f32_f16 v15, v27, v23, v15
	;;#ASMEND
	ds_read_b128 v[16:19], v50 offset:32
	;; [unrolled: 29-line block ×7, first 2 shown]
	ds_read_b128 v[20:23], v44 offset:880
	ds_read_b128 v[24:27], v50 offset:4720
	s_waitcnt lgkmcnt(1)
	;;#ASMSTART
	v_dot2_f32_f16 v14, v16, v20, v14
	;;#ASMEND
	;;#ASMSTART
	v_dot2_f32_f16 v14, v17, v21, v14
	;;#ASMEND
	;; [unrolled: 3-line block ×4, first 2 shown]
	s_waitcnt lgkmcnt(0)
	;;#ASMSTART
	v_dot2_f32_f16 v15, v24, v20, v15
	;;#ASMEND
	;;#ASMSTART
	v_dot2_f32_f16 v15, v25, v21, v15
	;;#ASMEND
	;; [unrolled: 3-line block ×4, first 2 shown]
	s_barrier
	buffer_gl0_inv
	s_clause 0x1
	global_load_dwordx4 v[16:19], v[1:2], off offset:896
	global_load_dwordx4 v[20:23], v[3:4], off offset:896
	s_waitcnt vmcnt(1)
	ds_write_b128 v48, v[16:19]
	s_waitcnt vmcnt(0)
	ds_write_b128 v49, v[20:23]
	s_waitcnt lgkmcnt(0)
	s_barrier
	buffer_gl0_inv
	ds_read_b128 v[16:19], v50
	ds_read_b128 v[20:23], v44 offset:896
	ds_read_b128 v[24:27], v50 offset:4608
	s_waitcnt lgkmcnt(1)
	;;#ASMSTART
	v_dot2_f32_f16 v14, v16, v20, v14
	;;#ASMEND
	;;#ASMSTART
	v_dot2_f32_f16 v14, v17, v21, v14
	;;#ASMEND
	;;#ASMSTART
	v_dot2_f32_f16 v14, v18, v22, v14
	;;#ASMEND
	;;#ASMSTART
	v_dot2_f32_f16 v14, v19, v23, v14
	;;#ASMEND
	s_waitcnt lgkmcnt(0)
	;;#ASMSTART
	v_dot2_f32_f16 v15, v24, v20, v15
	;;#ASMEND
	;;#ASMSTART
	v_dot2_f32_f16 v15, v25, v21, v15
	;;#ASMEND
	;;#ASMSTART
	v_dot2_f32_f16 v15, v26, v22, v15
	;;#ASMEND
	;;#ASMSTART
	v_dot2_f32_f16 v15, v27, v23, v15
	;;#ASMEND
	ds_read_b128 v[16:19], v50 offset:16
	ds_read_b128 v[20:23], v44 offset:912
	ds_read_b128 v[24:27], v50 offset:4624
	s_waitcnt lgkmcnt(1)
	;;#ASMSTART
	v_dot2_f32_f16 v14, v16, v20, v14
	;;#ASMEND
	;;#ASMSTART
	v_dot2_f32_f16 v14, v17, v21, v14
	;;#ASMEND
	;;#ASMSTART
	v_dot2_f32_f16 v14, v18, v22, v14
	;;#ASMEND
	;;#ASMSTART
	v_dot2_f32_f16 v14, v19, v23, v14
	;;#ASMEND
	s_waitcnt lgkmcnt(0)
	;;#ASMSTART
	v_dot2_f32_f16 v15, v24, v20, v15
	;;#ASMEND
	;;#ASMSTART
	v_dot2_f32_f16 v15, v25, v21, v15
	;;#ASMEND
	;;#ASMSTART
	v_dot2_f32_f16 v15, v26, v22, v15
	;;#ASMEND
	;;#ASMSTART
	v_dot2_f32_f16 v15, v27, v23, v15
	;;#ASMEND
	ds_read_b128 v[16:19], v50 offset:32
	;; [unrolled: 29-line block ×7, first 2 shown]
	ds_read_b128 v[20:23], v44 offset:1008
	ds_read_b128 v[24:27], v50 offset:4720
	s_waitcnt lgkmcnt(1)
	;;#ASMSTART
	v_dot2_f32_f16 v14, v16, v20, v14
	;;#ASMEND
	;;#ASMSTART
	v_dot2_f32_f16 v14, v17, v21, v14
	;;#ASMEND
	;; [unrolled: 3-line block ×4, first 2 shown]
	s_waitcnt lgkmcnt(0)
	;;#ASMSTART
	v_dot2_f32_f16 v15, v24, v20, v15
	;;#ASMEND
	;;#ASMSTART
	v_dot2_f32_f16 v15, v25, v21, v15
	;;#ASMEND
	;; [unrolled: 3-line block ×4, first 2 shown]
	s_barrier
	buffer_gl0_inv
	s_clause 0x1
	global_load_dwordx4 v[16:19], v[1:2], off offset:1024
	global_load_dwordx4 v[1:4], v[3:4], off offset:1024
	s_waitcnt vmcnt(1)
	ds_write_b128 v48, v[16:19]
	s_waitcnt vmcnt(0)
	ds_write_b128 v49, v[1:4]
	s_waitcnt lgkmcnt(0)
	s_barrier
	buffer_gl0_inv
	ds_read_b128 v[1:4], v50
	ds_read_b128 v[16:19], v44 offset:1024
	ds_read_b128 v[20:23], v50 offset:4608
	s_waitcnt lgkmcnt(1)
	;;#ASMSTART
	v_dot2_f32_f16 v14, v1, v16, v14
	;;#ASMEND
	;;#ASMSTART
	v_dot2_f32_f16 v14, v2, v17, v14
	;;#ASMEND
	;;#ASMSTART
	v_dot2_f32_f16 v14, v3, v18, v14
	;;#ASMEND
	;;#ASMSTART
	v_dot2_f32_f16 v14, v4, v19, v14
	;;#ASMEND
	s_waitcnt lgkmcnt(0)
	;;#ASMSTART
	v_dot2_f32_f16 v15, v20, v16, v15
	;;#ASMEND
	;;#ASMSTART
	v_dot2_f32_f16 v15, v21, v17, v15
	;;#ASMEND
	;;#ASMSTART
	v_dot2_f32_f16 v15, v22, v18, v15
	;;#ASMEND
	;;#ASMSTART
	v_dot2_f32_f16 v15, v23, v19, v15
	;;#ASMEND
	ds_read_b128 v[1:4], v50 offset:16
	ds_read_b128 v[16:19], v44 offset:1040
	ds_read_b128 v[20:23], v50 offset:4624
	s_waitcnt lgkmcnt(1)
	;;#ASMSTART
	v_dot2_f32_f16 v14, v1, v16, v14
	;;#ASMEND
	;;#ASMSTART
	v_dot2_f32_f16 v14, v2, v17, v14
	;;#ASMEND
	;;#ASMSTART
	v_dot2_f32_f16 v14, v3, v18, v14
	;;#ASMEND
	;;#ASMSTART
	v_dot2_f32_f16 v14, v4, v19, v14
	;;#ASMEND
	s_waitcnt lgkmcnt(0)
	;;#ASMSTART
	v_dot2_f32_f16 v15, v20, v16, v15
	;;#ASMEND
	;;#ASMSTART
	v_dot2_f32_f16 v15, v21, v17, v15
	;;#ASMEND
	;;#ASMSTART
	v_dot2_f32_f16 v15, v22, v18, v15
	;;#ASMEND
	;;#ASMSTART
	v_dot2_f32_f16 v15, v23, v19, v15
	;;#ASMEND
	ds_read_b128 v[1:4], v50 offset:32
	;; [unrolled: 29-line block ×7, first 2 shown]
	ds_read_b128 v[16:19], v44 offset:1136
	ds_read_b128 v[20:23], v50 offset:4720
	s_waitcnt lgkmcnt(1)
	;;#ASMSTART
	v_dot2_f32_f16 v14, v1, v16, v14
	;;#ASMEND
	;;#ASMSTART
	v_dot2_f32_f16 v14, v2, v17, v14
	;;#ASMEND
	;; [unrolled: 3-line block ×4, first 2 shown]
	v_cmp_ngt_f32_e64 s13, 0x3f200000, |v14|
	s_waitcnt lgkmcnt(0)
	;;#ASMSTART
	v_dot2_f32_f16 v15, v20, v16, v15
	;;#ASMEND
	;;#ASMSTART
	v_dot2_f32_f16 v15, v21, v17, v15
	;;#ASMEND
	;; [unrolled: 3-line block ×4, first 2 shown]
                                        ; implicit-def: $vgpr3
	s_and_saveexec_b32 s15, s13
	s_xor_b32 s13, exec_lo, s15
	s_cbranch_execz .LBB27_13
; %bb.12:                               ;   in Loop: Header=BB27_11 Depth=1
	v_add_f32_e64 v1, |v14|, |v14|
	v_mul_f32_e32 v2, 0x3fb8aa3b, v1
	v_cmp_ngt_f32_e32 vcc_lo, 0xc2ce8ed0, v1
	v_rndne_f32_e32 v3, v2
	v_fma_f32 v4, 0x3fb8aa3b, v1, -v2
	v_sub_f32_e32 v2, v2, v3
	v_fmac_f32_e32 v4, 0x32a5705f, v1
	v_cvt_i32_f32_e32 v3, v3
	v_add_f32_e32 v2, v2, v4
	v_exp_f32_e32 v2, v2
	v_ldexp_f32 v2, v2, v3
	v_cndmask_b32_e32 v2, 0, v2, vcc_lo
	v_cmp_nlt_f32_e32 vcc_lo, 0x42b17218, v1
	v_cndmask_b32_e32 v1, 0x7f800000, v2, vcc_lo
	v_add_f32_e32 v1, 1.0, v1
	v_rcp_f32_e32 v1, v1
	v_fma_f32 v3, v1, -2.0, 1.0
.LBB27_13:                              ;   in Loop: Header=BB27_11 Depth=1
	s_andn2_saveexec_b32 s13, s13
	s_cbranch_execz .LBB27_15
; %bb.14:                               ;   in Loop: Header=BB27_11 Depth=1
	v_mul_f32_e32 v1, v14, v14
	v_fmaak_f32 v2, s12, v1, 0x3ca908c9
	v_fmaak_f32 v2, v1, v2, 0xbd5c1c4e
	;; [unrolled: 1-line block ×4, first 2 shown]
	v_mul_f32_e64 v2, |v14|, v2
	v_fma_f32 v3, v1, v2, |v14|
.LBB27_15:                              ;   in Loop: Header=BB27_11 Depth=1
	s_or_b32 exec_lo, exec_lo, s13
	v_add_nc_u32_e32 v1, s6, v38
	v_cmp_ngt_f32_e64 s13, 0x3f200000, |v15|
                                        ; implicit-def: $vgpr16
	v_ashrrev_i32_e32 v2, 31, v1
	v_lshlrev_b64 v[1:2], 1, v[1:2]
	v_add_co_u32 v1, vcc_lo, s34, v1
	v_add_co_ci_u32_e64 v2, null, s35, v2, vcc_lo
	global_load_ushort v4, v[1:2], off
	s_and_saveexec_b32 s15, s13
	s_xor_b32 s13, exec_lo, s15
	s_cbranch_execz .LBB27_17
; %bb.16:                               ;   in Loop: Header=BB27_11 Depth=1
	v_add_f32_e64 v16, |v15|, |v15|
	v_mul_f32_e32 v17, 0x3fb8aa3b, v16
	v_cmp_ngt_f32_e32 vcc_lo, 0xc2ce8ed0, v16
	v_rndne_f32_e32 v18, v17
	v_fma_f32 v19, 0x3fb8aa3b, v16, -v17
	v_sub_f32_e32 v17, v17, v18
	v_fmac_f32_e32 v19, 0x32a5705f, v16
	v_cvt_i32_f32_e32 v18, v18
	v_add_f32_e32 v17, v17, v19
	v_exp_f32_e32 v17, v17
	v_ldexp_f32 v17, v17, v18
	v_cndmask_b32_e32 v17, 0, v17, vcc_lo
	v_cmp_nlt_f32_e32 vcc_lo, 0x42b17218, v16
	v_cndmask_b32_e32 v16, 0x7f800000, v17, vcc_lo
	v_add_f32_e32 v16, 1.0, v16
	v_rcp_f32_e32 v16, v16
	v_fma_f32 v16, v16, -2.0, 1.0
.LBB27_17:                              ;   in Loop: Header=BB27_11 Depth=1
	s_andn2_saveexec_b32 s13, s13
	s_cbranch_execz .LBB27_19
; %bb.18:                               ;   in Loop: Header=BB27_11 Depth=1
	v_mul_f32_e32 v16, v15, v15
	v_fmaak_f32 v17, s12, v16, 0x3ca908c9
	v_fmaak_f32 v17, v16, v17, 0xbd5c1c4e
	;; [unrolled: 1-line block ×4, first 2 shown]
	v_mul_f32_e64 v17, |v15|, v17
	v_fma_f32 v16, v16, v17, |v15|
.LBB27_19:                              ;   in Loop: Header=BB27_11 Depth=1
	s_or_b32 exec_lo, exec_lo, s13
	global_load_ushort v25, v[1:2], off offset:64
	s_mul_hi_i32 s19, s6, s8
	s_mul_i32 s18, s6, s8
	s_waitcnt vmcnt(0)
	s_lshl_b64 s[18:19], s[18:19], 2
	s_barrier
	v_add_co_u32 v1, vcc_lo, v56, s18
	v_add_co_ci_u32_e64 v2, null, s19, v57, vcc_lo
	buffer_gl0_inv
	s_clause 0x1
	global_load_dwordx4 v[17:20], v[1:2], off
	global_load_dwordx4 v[21:24], v[1:2], off offset:512
	v_bfi_b32 v1, 0x7fffffff, v3, v14
	v_bfi_b32 v2, 0x7fffffff, v16, v15
	v_xor_b32_e32 v62, 16, v47
	v_xor_b32_e32 v61, 8, v47
	;; [unrolled: 1-line block ×3, first 2 shown]
	v_fma_mix_f32 v1, s10, v1, v4 op_sel_hi:[0,0,1]
	v_xor_b32_e32 v64, 2, v47
	v_cmp_gt_i32_e32 vcc_lo, 32, v62
	v_xor_b32_e32 v65, 1, v47
	v_add_nc_u32_e32 v67, 0x800, v55
	v_add_f32_e32 v4, 0x40051340, v1
	s_or_b32 s13, s6, 8
	v_cndmask_b32_e32 v3, v47, v62, vcc_lo
	v_cmp_gt_i32_e32 vcc_lo, 32, v61
	v_add_nc_u32_e32 v66, 0x1000, v55
	s_mul_hi_i32 s19, s13, s8
	s_mul_i32 s18, s13, s8
	v_lshlrev_b32_e32 v3, 2, v3
	v_add_nc_u32_e32 v69, 0x1800, v55
	s_lshl_b64 s[18:19], s[18:19], 2
	s_or_b32 s13, s6, 16
	v_fma_mix_f32 v2, s10, v2, v25 op_sel_hi:[0,0,1]
	v_add_f32_e32 v14, 0x40051340, v2
	v_max3_f32 v4, v13, v4, v14
	v_cndmask_b32_e32 v14, v47, v61, vcc_lo
	v_cmp_gt_i32_e32 vcc_lo, 32, v63
	ds_bpermute_b32 v3, v3, v4
	v_lshlrev_b32_e32 v14, 2, v14
	s_waitcnt lgkmcnt(0)
	v_max_f32_e32 v3, v3, v3
	v_max_f32_e32 v3, v4, v3
	ds_bpermute_b32 v4, v14, v3
	v_cndmask_b32_e32 v14, v47, v63, vcc_lo
	v_cmp_gt_i32_e32 vcc_lo, 32, v64
	v_lshlrev_b32_e32 v14, 2, v14
	s_waitcnt lgkmcnt(0)
	v_max_f32_e32 v4, v4, v4
	v_max_f32_e32 v3, v3, v4
	ds_bpermute_b32 v4, v14, v3
	v_cndmask_b32_e32 v14, v47, v64, vcc_lo
	v_cmp_gt_i32_e32 vcc_lo, 32, v65
	v_lshlrev_b32_e32 v14, 2, v14
	s_waitcnt lgkmcnt(0)
	v_max_f32_e32 v4, v4, v4
	v_max_f32_e32 v3, v3, v4
	ds_bpermute_b32 v4, v14, v3
	v_cndmask_b32_e32 v14, v47, v65, vcc_lo
	v_lshlrev_b32_e32 v14, 2, v14
	s_waitcnt lgkmcnt(0)
	v_max_f32_e32 v4, v4, v4
	v_max_f32_e32 v3, v3, v4
	ds_bpermute_b32 v4, v14, v3
	s_waitcnt lgkmcnt(0)
	v_max_f32_e32 v4, v4, v4
	v_max_f32_e32 v43, v3, v4
	v_sub_f32_e32 v1, v1, v43
	v_sub_f32_e32 v2, v2, v43
	;; [unrolled: 1-line block ×3, first 2 shown]
	v_mul_f32_e32 v4, 0x3fb8aa3b, v1
	v_mul_f32_e32 v13, 0x3fb8aa3b, v2
	;; [unrolled: 1-line block ×3, first 2 shown]
	v_cmp_ngt_f32_e32 vcc_lo, 0xc2ce8ed0, v1
	v_fma_f32 v15, 0x3fb8aa3b, v1, -v4
	v_rndne_f32_e32 v16, v4
	v_fma_f32 v25, 0x3fb8aa3b, v2, -v13
	v_rndne_f32_e32 v26, v13
	v_fma_f32 v27, 0x3fb8aa3b, v3, -v14
	v_fmac_f32_e32 v15, 0x32a5705f, v1
	v_sub_f32_e32 v4, v4, v16
	v_rndne_f32_e32 v28, v14
	v_fmac_f32_e32 v25, 0x32a5705f, v2
	v_sub_f32_e32 v13, v13, v26
	v_fmac_f32_e32 v27, 0x32a5705f, v3
	v_add_f32_e32 v4, v4, v15
	v_sub_f32_e32 v14, v14, v28
	v_cvt_i32_f32_e32 v15, v16
	v_add_f32_e32 v13, v13, v25
	v_cvt_i32_f32_e32 v16, v26
	v_exp_f32_e32 v4, v4
	v_add_f32_e32 v14, v14, v27
	v_cvt_i32_f32_e32 v25, v28
	v_exp_f32_e32 v13, v13
	v_exp_f32_e32 v14, v14
	v_ldexp_f32 v4, v4, v15
	v_ldexp_f32 v13, v13, v16
	v_cndmask_b32_e32 v4, 0, v4, vcc_lo
	v_cmp_ngt_f32_e32 vcc_lo, 0xc2ce8ed0, v2
	v_ldexp_f32 v14, v14, v25
	v_cndmask_b32_e32 v13, 0, v13, vcc_lo
	v_cmp_ngt_f32_e32 vcc_lo, 0xc2ce8ed0, v3
	v_cndmask_b32_e32 v14, 0, v14, vcc_lo
	v_cmp_nlt_f32_e32 vcc_lo, 0x42b17218, v1
	v_cndmask_b32_e32 v70, 0x7f800000, v4, vcc_lo
	v_cmp_nlt_f32_e32 vcc_lo, 0x42b17218, v2
	v_cvt_f16_f32_e32 v1, v70
	v_cndmask_b32_e32 v71, 0x7f800000, v13, vcc_lo
	v_cmp_nlt_f32_e32 vcc_lo, 0x42b17218, v3
	v_cvt_f16_f32_e32 v2, v71
	ds_write_b16 v52, v1
	ds_write_b16 v52, v2 offset:64
	s_waitcnt vmcnt(1)
	ds_write_b128 v53, v[17:20]
	s_waitcnt vmcnt(0)
	ds_write_b128 v54, v[21:24]
	s_waitcnt lgkmcnt(0)
	s_barrier
	buffer_gl0_inv
	ds_read_b128 v[1:4], v51
	v_cndmask_b32_e32 v68, 0x7f800000, v14, vcc_lo
	ds_read2_b64 v[13:16], v55 offset0:64 offset1:96
	ds_read2_b64 v[17:20], v55 offset1:32
	v_add_co_u32 v100, vcc_lo, v56, s18
	v_add_co_ci_u32_e64 v101, null, s19, v57, vcc_lo
	v_cvt_f16_f32_e32 v25, v68
	s_mul_hi_i32 s19, s13, s8
	s_mul_i32 s18, s13, s8
	s_or_b32 s13, s6, 24
	s_lshl_b64 s[18:19], s[18:19], 2
	v_mul_u32_u24_sdwa v102, v25, v59 dst_sel:DWORD dst_unused:UNUSED_PAD src0_sel:WORD_0 src1_sel:DWORD
	ds_read2_b64 v[21:24], v55 offset0:128 offset1:160
	ds_read2_b64 v[25:28], v55 offset0:192 offset1:224
	ds_read2_b64 v[29:32], v67 offset1:32
	ds_read2_b64 v[33:36], v67 offset0:64 offset1:96
	ds_read2_b64 v[72:75], v67 offset0:128 offset1:160
	;; [unrolled: 1-line block ×3, first 2 shown]
	ds_read2_b64 v[80:83], v66 offset1:32
	ds_read2_b64 v[84:87], v66 offset0:64 offset1:96
	ds_read2_b64 v[88:91], v66 offset0:128 offset1:160
	;; [unrolled: 1-line block ×3, first 2 shown]
	ds_read2_b64 v[96:99], v69 offset1:32
	v_add_f32_e32 v70, v70, v71
	v_pk_mul_f16 v11, v11, v102
	v_pk_mul_f16 v9, v9, v102
	;; [unrolled: 1-line block ×3, first 2 shown]
	s_waitcnt lgkmcnt(13)
	v_mul_u32_u24_sdwa v103, v1, v59 dst_sel:DWORD dst_unused:UNUSED_PAD src0_sel:WORD_0 src1_sel:DWORD
	v_pk_mul_f16 v8, v8, v102
	v_pk_mul_f16 v7, v7, v102
	;; [unrolled: 1-line block ×3, first 2 shown]
	v_mul_u32_u24_sdwa v1, v1, v59 dst_sel:DWORD dst_unused:UNUSED_PAD src0_sel:WORD_1 src1_sel:DWORD
	s_waitcnt lgkmcnt(12)
	v_pk_fma_f16 v13, v13, v103, v9
	v_pk_fma_f16 v14, v14, v103, v10
	;; [unrolled: 1-line block ×4, first 2 shown]
	s_waitcnt lgkmcnt(11)
	v_pk_mul_f16 v17, v17, v103
	v_pk_fma_f16 v19, v19, v103, v11
	v_pk_fma_f16 v20, v20, v103, v12
	v_pk_mul_f16 v103, v18, v103
	ds_read2_b64 v[7:10], v69 offset0:64 offset1:96
	v_pk_fma_f16 v6, v6, v102, v17
	s_waitcnt lgkmcnt(10)
	v_pk_fma_f16 v104, v25, v1, v13
	v_pk_fma_f16 v105, v26, v1, v14
	;; [unrolled: 1-line block ×5, first 2 shown]
	ds_read2_b64 v[11:14], v69 offset0:128 offset1:160
	ds_read2_b64 v[15:18], v69 offset0:192 offset1:224
	s_waitcnt lgkmcnt(0)
	s_barrier
	buffer_gl0_inv
	v_pk_fma_f16 v102, v23, v1, v19
	v_pk_fma_f16 v103, v24, v1, v20
	;; [unrolled: 1-line block ×4, first 2 shown]
	s_clause 0x1
	global_load_dwordx4 v[19:22], v[100:101], off
	global_load_dwordx4 v[23:26], v[100:101], off offset:512
	v_mul_u32_u24_sdwa v5, v2, v59 dst_sel:DWORD dst_unused:UNUSED_PAD src0_sel:WORD_0 src1_sel:DWORD
	v_mul_u32_u24_sdwa v2, v2, v59 dst_sel:DWORD dst_unused:UNUSED_PAD src0_sel:WORD_1 src1_sel:DWORD
	v_add_co_u32 v100, vcc_lo, v56, s18
	v_add_co_ci_u32_e64 v101, null, s19, v57, vcc_lo
	v_pk_fma_f16 v33, v33, v5, v104
	v_pk_fma_f16 v34, v34, v5, v105
	;; [unrolled: 1-line block ×3, first 2 shown]
	v_mul_u32_u24_sdwa v36, v4, v59 dst_sel:DWORD dst_unused:UNUSED_PAD src0_sel:WORD_0 src1_sel:DWORD
	v_mul_u32_u24_sdwa v104, v4, v59 dst_sel:DWORD dst_unused:UNUSED_PAD src0_sel:WORD_1 src1_sel:DWORD
	v_pk_fma_f16 v4, v31, v5, v102
	v_pk_fma_f16 v31, v32, v5, v103
	;; [unrolled: 1-line block ×3, first 2 shown]
	v_mul_u32_u24_sdwa v35, v3, v59 dst_sel:DWORD dst_unused:UNUSED_PAD src0_sel:WORD_0 src1_sel:DWORD
	v_pk_fma_f16 v6, v29, v5, v6
	v_pk_fma_f16 v1, v30, v5, v1
	;; [unrolled: 1-line block ×6, first 2 shown]
	v_mul_u32_u24_sdwa v3, v3, v59 dst_sel:DWORD dst_unused:UNUSED_PAD src0_sel:WORD_1 src1_sel:DWORD
	v_pk_fma_f16 v27, v78, v2, v27
	v_pk_fma_f16 v28, v79, v2, v28
	;; [unrolled: 1-line block ×30, first 2 shown]
	s_mul_hi_i32 s19, s13, s8
	s_mul_i32 s18, s13, s8
	s_or_b32 s13, s6, 32
	s_lshl_b64 s[18:19], s[18:19], 2
	v_fmac_f32_e32 v70, v60, v68
	s_waitcnt vmcnt(1)
	ds_write_b128 v53, v[19:22]
	s_waitcnt vmcnt(0)
	ds_write_b128 v54, v[23:26]
	s_waitcnt lgkmcnt(0)
	s_barrier
	buffer_gl0_inv
	ds_read_b128 v[1:4], v51 offset:16
	v_pk_fma_f16 v19, v96, v36, v6
	ds_read2_b64 v[5:8], v55 offset1:32
	ds_read2_b64 v[13:16], v55 offset0:64 offset1:96
	v_pk_fma_f16 v20, v97, v36, v30
	v_pk_fma_f16 v96, v17, v104, v9
	;; [unrolled: 1-line block ×5, first 2 shown]
	ds_read2_b64 v[9:12], v55 offset0:128 offset1:160
	ds_read2_b64 v[17:20], v55 offset0:192 offset1:224
	ds_read2_b64 v[21:24], v67 offset1:32
	ds_read2_b64 v[25:28], v67 offset0:64 offset1:96
	ds_read2_b64 v[29:32], v67 offset0:128 offset1:160
	;; [unrolled: 1-line block ×3, first 2 shown]
	ds_read2_b64 v[72:75], v66 offset1:32
	ds_read2_b64 v[76:79], v66 offset0:64 offset1:96
	ds_read2_b64 v[80:83], v66 offset0:128 offset1:160
	;; [unrolled: 1-line block ×3, first 2 shown]
	ds_read2_b64 v[88:91], v69 offset1:32
	s_waitcnt lgkmcnt(13)
	v_mul_u32_u24_sdwa v102, v1, v59 dst_sel:DWORD dst_unused:UNUSED_PAD src0_sel:WORD_0 src1_sel:DWORD
	v_mul_u32_u24_sdwa v1, v1, v59 dst_sel:DWORD dst_unused:UNUSED_PAD src0_sel:WORD_1 src1_sel:DWORD
	s_waitcnt lgkmcnt(12)
	v_pk_fma_f16 v98, v5, v102, v98
	v_pk_fma_f16 v99, v6, v102, v99
	;; [unrolled: 1-line block ×4, first 2 shown]
	s_waitcnt lgkmcnt(11)
	v_pk_fma_f16 v94, v13, v102, v94
	v_pk_fma_f16 v95, v14, v102, v95
	;; [unrolled: 1-line block ×4, first 2 shown]
	ds_read2_b64 v[5:8], v69 offset0:64 offset1:96
	ds_read2_b64 v[13:16], v69 offset0:128 offset1:160
	s_waitcnt lgkmcnt(12)
	v_pk_fma_f16 v98, v9, v1, v98
	v_pk_fma_f16 v99, v10, v1, v99
	;; [unrolled: 1-line block ×4, first 2 shown]
	ds_read2_b64 v[9:12], v69 offset0:192 offset1:224
	s_waitcnt lgkmcnt(0)
	s_barrier
	buffer_gl0_inv
	v_pk_fma_f16 v104, v17, v1, v94
	v_pk_fma_f16 v105, v18, v1, v95
	v_pk_fma_f16 v106, v19, v1, v96
	v_pk_fma_f16 v1, v20, v1, v97
	s_clause 0x1
	global_load_dwordx4 v[17:20], v[100:101], off
	global_load_dwordx4 v[92:95], v[100:101], off offset:512
	v_mul_u32_u24_sdwa v100, v2, v59 dst_sel:DWORD dst_unused:UNUSED_PAD src0_sel:WORD_0 src1_sel:DWORD
	v_mul_u32_u24_sdwa v2, v2, v59 dst_sel:DWORD dst_unused:UNUSED_PAD src0_sel:WORD_1 src1_sel:DWORD
	v_mul_u32_u24_sdwa v101, v4, v59 dst_sel:DWORD dst_unused:UNUSED_PAD src0_sel:WORD_1 src1_sel:DWORD
	v_add_co_u32 v96, vcc_lo, v56, s18
	v_pk_fma_f16 v21, v21, v100, v98
	v_pk_fma_f16 v22, v22, v100, v99
	v_pk_fma_f16 v23, v23, v100, v102
	v_pk_fma_f16 v24, v24, v100, v103
	v_mul_u32_u24_sdwa v99, v4, v59 dst_sel:DWORD dst_unused:UNUSED_PAD src0_sel:WORD_0 src1_sel:DWORD
	v_pk_fma_f16 v4, v25, v100, v104
	v_mul_u32_u24_sdwa v98, v3, v59 dst_sel:DWORD dst_unused:UNUSED_PAD src0_sel:WORD_0 src1_sel:DWORD
	v_pk_fma_f16 v25, v26, v100, v105
	v_pk_fma_f16 v26, v27, v100, v106
	;; [unrolled: 1-line block ×8, first 2 shown]
	v_mul_u32_u24_sdwa v3, v3, v59 dst_sel:DWORD dst_unused:UNUSED_PAD src0_sel:WORD_1 src1_sel:DWORD
	v_pk_fma_f16 v25, v34, v2, v25
	v_pk_fma_f16 v26, v35, v2, v26
	;; [unrolled: 1-line block ×25, first 2 shown]
	v_add_co_ci_u32_e64 v97, null, s19, v57, vcc_lo
	s_mul_hi_i32 s19, s13, s8
	v_pk_fma_f16 v98, v9, v101, v28
	s_mul_i32 s18, s13, s8
	s_or_b32 s13, s6, 40
	s_lshl_b64 s[18:19], s[18:19], 2
	s_waitcnt vmcnt(1)
	ds_write_b128 v53, v[17:20]
	s_waitcnt vmcnt(0)
	ds_write_b128 v54, v[92:95]
	s_waitcnt lgkmcnt(0)
	s_barrier
	buffer_gl0_inv
	ds_read_b128 v[1:4], v51 offset:32
	v_pk_fma_f16 v17, v7, v99, v25
	v_pk_fma_f16 v18, v8, v99, v26
	;; [unrolled: 1-line block ×4, first 2 shown]
	ds_read2_b64 v[5:8], v55 offset1:32
	v_pk_fma_f16 v94, v15, v101, v22
	v_pk_fma_f16 v95, v16, v101, v23
	ds_read2_b64 v[13:16], v55 offset0:64 offset1:96
	v_pk_fma_f16 v99, v10, v101, v24
	v_pk_fma_f16 v100, v11, v101, v17
	;; [unrolled: 1-line block ×3, first 2 shown]
	ds_read2_b64 v[9:12], v55 offset0:128 offset1:160
	ds_read2_b64 v[17:20], v55 offset0:192 offset1:224
	ds_read2_b64 v[21:24], v67 offset1:32
	ds_read2_b64 v[25:28], v67 offset0:64 offset1:96
	ds_read2_b64 v[29:32], v67 offset0:128 offset1:160
	ds_read2_b64 v[33:36], v67 offset0:192 offset1:224
	ds_read2_b64 v[72:75], v66 offset1:32
	ds_read2_b64 v[76:79], v66 offset0:64 offset1:96
	ds_read2_b64 v[80:83], v66 offset0:128 offset1:160
	;; [unrolled: 1-line block ×3, first 2 shown]
	ds_read2_b64 v[88:91], v69 offset1:32
	s_waitcnt lgkmcnt(13)
	v_mul_u32_u24_sdwa v102, v1, v59 dst_sel:DWORD dst_unused:UNUSED_PAD src0_sel:WORD_0 src1_sel:DWORD
	v_mul_u32_u24_sdwa v1, v1, v59 dst_sel:DWORD dst_unused:UNUSED_PAD src0_sel:WORD_1 src1_sel:DWORD
	s_waitcnt lgkmcnt(12)
	v_pk_fma_f16 v92, v5, v102, v92
	v_pk_fma_f16 v93, v6, v102, v93
	;; [unrolled: 1-line block ×4, first 2 shown]
	s_waitcnt lgkmcnt(11)
	v_pk_fma_f16 v98, v13, v102, v98
	v_pk_fma_f16 v99, v14, v102, v99
	v_pk_fma_f16 v100, v15, v102, v100
	v_pk_fma_f16 v101, v16, v102, v101
	ds_read2_b64 v[5:8], v69 offset0:64 offset1:96
	ds_read2_b64 v[13:16], v69 offset0:128 offset1:160
	s_waitcnt lgkmcnt(12)
	v_pk_fma_f16 v102, v9, v1, v92
	v_pk_fma_f16 v103, v10, v1, v93
	;; [unrolled: 1-line block ×4, first 2 shown]
	ds_read2_b64 v[9:12], v69 offset0:192 offset1:224
	s_waitcnt lgkmcnt(0)
	s_barrier
	buffer_gl0_inv
	v_pk_fma_f16 v98, v17, v1, v98
	v_pk_fma_f16 v99, v18, v1, v99
	;; [unrolled: 1-line block ×4, first 2 shown]
	s_clause 0x1
	global_load_dwordx4 v[17:20], v[96:97], off
	global_load_dwordx4 v[92:95], v[96:97], off offset:512
	v_mul_u32_u24_sdwa v101, v2, v59 dst_sel:DWORD dst_unused:UNUSED_PAD src0_sel:WORD_0 src1_sel:DWORD
	v_mul_u32_u24_sdwa v2, v2, v59 dst_sel:DWORD dst_unused:UNUSED_PAD src0_sel:WORD_1 src1_sel:DWORD
	v_add_co_u32 v96, vcc_lo, v56, s18
	v_add_co_ci_u32_e64 v97, null, s19, v57, vcc_lo
	v_pk_fma_f16 v21, v21, v101, v102
	v_pk_fma_f16 v22, v22, v101, v103
	;; [unrolled: 1-line block ×4, first 2 shown]
	v_mul_u32_u24_sdwa v103, v4, v59 dst_sel:DWORD dst_unused:UNUSED_PAD src0_sel:WORD_0 src1_sel:DWORD
	v_mul_u32_u24_sdwa v104, v4, v59 dst_sel:DWORD dst_unused:UNUSED_PAD src0_sel:WORD_1 src1_sel:DWORD
	v_pk_fma_f16 v4, v25, v101, v98
	v_mul_u32_u24_sdwa v102, v3, v59 dst_sel:DWORD dst_unused:UNUSED_PAD src0_sel:WORD_0 src1_sel:DWORD
	v_pk_fma_f16 v25, v26, v101, v99
	v_pk_fma_f16 v26, v27, v101, v100
	;; [unrolled: 1-line block ×8, first 2 shown]
	v_mul_u32_u24_sdwa v3, v3, v59 dst_sel:DWORD dst_unused:UNUSED_PAD src0_sel:WORD_1 src1_sel:DWORD
	v_pk_fma_f16 v25, v34, v2, v25
	v_pk_fma_f16 v26, v35, v2, v26
	;; [unrolled: 1-line block ×25, first 2 shown]
	s_mul_hi_i32 s19, s13, s8
	s_mul_i32 s18, s13, s8
	s_or_b32 s13, s6, 48
	v_pk_fma_f16 v98, v9, v104, v28
	v_pk_fma_f16 v99, v10, v104, v24
	s_lshl_b64 s[18:19], s[18:19], 2
	s_waitcnt vmcnt(1)
	ds_write_b128 v53, v[17:20]
	s_waitcnt vmcnt(0)
	ds_write_b128 v54, v[92:95]
	s_waitcnt lgkmcnt(0)
	s_barrier
	buffer_gl0_inv
	ds_read_b128 v[1:4], v51 offset:48
	v_pk_fma_f16 v17, v7, v103, v25
	v_pk_fma_f16 v18, v8, v103, v26
	;; [unrolled: 1-line block ×4, first 2 shown]
	ds_read2_b64 v[5:8], v55 offset1:32
	v_pk_fma_f16 v94, v15, v104, v22
	v_pk_fma_f16 v95, v16, v104, v23
	ds_read2_b64 v[13:16], v55 offset0:64 offset1:96
	v_pk_fma_f16 v100, v11, v104, v17
	v_pk_fma_f16 v101, v12, v104, v18
	ds_read2_b64 v[9:12], v55 offset0:128 offset1:160
	ds_read2_b64 v[17:20], v55 offset0:192 offset1:224
	ds_read2_b64 v[21:24], v67 offset1:32
	ds_read2_b64 v[25:28], v67 offset0:64 offset1:96
	ds_read2_b64 v[29:32], v67 offset0:128 offset1:160
	;; [unrolled: 1-line block ×3, first 2 shown]
	ds_read2_b64 v[72:75], v66 offset1:32
	ds_read2_b64 v[76:79], v66 offset0:64 offset1:96
	ds_read2_b64 v[80:83], v66 offset0:128 offset1:160
	ds_read2_b64 v[84:87], v66 offset0:192 offset1:224
	ds_read2_b64 v[88:91], v69 offset1:32
	s_waitcnt lgkmcnt(13)
	v_mul_u32_u24_sdwa v102, v1, v59 dst_sel:DWORD dst_unused:UNUSED_PAD src0_sel:WORD_0 src1_sel:DWORD
	v_mul_u32_u24_sdwa v1, v1, v59 dst_sel:DWORD dst_unused:UNUSED_PAD src0_sel:WORD_1 src1_sel:DWORD
	s_waitcnt lgkmcnt(12)
	v_pk_fma_f16 v92, v5, v102, v92
	v_pk_fma_f16 v93, v6, v102, v93
	;; [unrolled: 1-line block ×4, first 2 shown]
	s_waitcnt lgkmcnt(11)
	v_pk_fma_f16 v98, v13, v102, v98
	v_pk_fma_f16 v99, v14, v102, v99
	;; [unrolled: 1-line block ×4, first 2 shown]
	ds_read2_b64 v[5:8], v69 offset0:64 offset1:96
	ds_read2_b64 v[13:16], v69 offset0:128 offset1:160
	s_waitcnt lgkmcnt(12)
	v_pk_fma_f16 v102, v9, v1, v92
	v_pk_fma_f16 v103, v10, v1, v93
	;; [unrolled: 1-line block ×4, first 2 shown]
	ds_read2_b64 v[9:12], v69 offset0:192 offset1:224
	s_waitcnt lgkmcnt(0)
	s_barrier
	buffer_gl0_inv
	v_pk_fma_f16 v98, v17, v1, v98
	v_pk_fma_f16 v99, v18, v1, v99
	;; [unrolled: 1-line block ×4, first 2 shown]
	s_clause 0x1
	global_load_dwordx4 v[17:20], v[96:97], off
	global_load_dwordx4 v[92:95], v[96:97], off offset:512
	v_mul_u32_u24_sdwa v101, v2, v59 dst_sel:DWORD dst_unused:UNUSED_PAD src0_sel:WORD_0 src1_sel:DWORD
	v_mul_u32_u24_sdwa v2, v2, v59 dst_sel:DWORD dst_unused:UNUSED_PAD src0_sel:WORD_1 src1_sel:DWORD
	v_add_co_u32 v96, vcc_lo, v56, s18
	v_add_co_ci_u32_e64 v97, null, s19, v57, vcc_lo
	v_pk_fma_f16 v21, v21, v101, v102
	v_pk_fma_f16 v22, v22, v101, v103
	;; [unrolled: 1-line block ×4, first 2 shown]
	v_mul_u32_u24_sdwa v103, v4, v59 dst_sel:DWORD dst_unused:UNUSED_PAD src0_sel:WORD_0 src1_sel:DWORD
	v_mul_u32_u24_sdwa v104, v4, v59 dst_sel:DWORD dst_unused:UNUSED_PAD src0_sel:WORD_1 src1_sel:DWORD
	v_pk_fma_f16 v4, v25, v101, v98
	v_mul_u32_u24_sdwa v102, v3, v59 dst_sel:DWORD dst_unused:UNUSED_PAD src0_sel:WORD_0 src1_sel:DWORD
	v_pk_fma_f16 v25, v26, v101, v99
	v_pk_fma_f16 v26, v27, v101, v100
	;; [unrolled: 1-line block ×8, first 2 shown]
	v_mul_u32_u24_sdwa v3, v3, v59 dst_sel:DWORD dst_unused:UNUSED_PAD src0_sel:WORD_1 src1_sel:DWORD
	v_pk_fma_f16 v25, v34, v2, v25
	v_pk_fma_f16 v26, v35, v2, v26
	;; [unrolled: 1-line block ×25, first 2 shown]
	s_mul_hi_i32 s19, s13, s8
	s_mul_i32 s18, s13, s8
	s_or_b32 s13, s6, 56
	v_pk_fma_f16 v98, v9, v104, v28
	v_pk_fma_f16 v99, v10, v104, v24
	s_lshl_b64 s[18:19], s[18:19], 2
	s_waitcnt vmcnt(1)
	ds_write_b128 v53, v[17:20]
	s_waitcnt vmcnt(0)
	ds_write_b128 v54, v[92:95]
	s_waitcnt lgkmcnt(0)
	s_barrier
	buffer_gl0_inv
	ds_read_b128 v[1:4], v51 offset:64
	v_pk_fma_f16 v17, v7, v103, v25
	v_pk_fma_f16 v18, v8, v103, v26
	;; [unrolled: 1-line block ×4, first 2 shown]
	ds_read2_b64 v[5:8], v55 offset1:32
	v_pk_fma_f16 v94, v15, v104, v22
	v_pk_fma_f16 v95, v16, v104, v23
	ds_read2_b64 v[13:16], v55 offset0:64 offset1:96
	v_pk_fma_f16 v100, v11, v104, v17
	v_pk_fma_f16 v101, v12, v104, v18
	ds_read2_b64 v[9:12], v55 offset0:128 offset1:160
	ds_read2_b64 v[17:20], v55 offset0:192 offset1:224
	ds_read2_b64 v[21:24], v67 offset1:32
	ds_read2_b64 v[25:28], v67 offset0:64 offset1:96
	ds_read2_b64 v[29:32], v67 offset0:128 offset1:160
	;; [unrolled: 1-line block ×3, first 2 shown]
	ds_read2_b64 v[72:75], v66 offset1:32
	ds_read2_b64 v[76:79], v66 offset0:64 offset1:96
	ds_read2_b64 v[80:83], v66 offset0:128 offset1:160
	;; [unrolled: 1-line block ×3, first 2 shown]
	ds_read2_b64 v[88:91], v69 offset1:32
	s_waitcnt lgkmcnt(13)
	v_mul_u32_u24_sdwa v102, v1, v59 dst_sel:DWORD dst_unused:UNUSED_PAD src0_sel:WORD_0 src1_sel:DWORD
	v_mul_u32_u24_sdwa v1, v1, v59 dst_sel:DWORD dst_unused:UNUSED_PAD src0_sel:WORD_1 src1_sel:DWORD
	s_waitcnt lgkmcnt(12)
	v_pk_fma_f16 v92, v5, v102, v92
	v_pk_fma_f16 v93, v6, v102, v93
	;; [unrolled: 1-line block ×4, first 2 shown]
	s_waitcnt lgkmcnt(11)
	v_pk_fma_f16 v98, v13, v102, v98
	v_pk_fma_f16 v99, v14, v102, v99
	;; [unrolled: 1-line block ×4, first 2 shown]
	ds_read2_b64 v[5:8], v69 offset0:64 offset1:96
	ds_read2_b64 v[13:16], v69 offset0:128 offset1:160
	s_waitcnt lgkmcnt(12)
	v_pk_fma_f16 v102, v9, v1, v92
	v_pk_fma_f16 v103, v10, v1, v93
	;; [unrolled: 1-line block ×4, first 2 shown]
	ds_read2_b64 v[9:12], v69 offset0:192 offset1:224
	s_waitcnt lgkmcnt(0)
	s_barrier
	buffer_gl0_inv
	v_pk_fma_f16 v98, v17, v1, v98
	v_pk_fma_f16 v99, v18, v1, v99
	;; [unrolled: 1-line block ×4, first 2 shown]
	s_clause 0x1
	global_load_dwordx4 v[17:20], v[96:97], off
	global_load_dwordx4 v[92:95], v[96:97], off offset:512
	v_mul_u32_u24_sdwa v101, v2, v59 dst_sel:DWORD dst_unused:UNUSED_PAD src0_sel:WORD_0 src1_sel:DWORD
	v_mul_u32_u24_sdwa v2, v2, v59 dst_sel:DWORD dst_unused:UNUSED_PAD src0_sel:WORD_1 src1_sel:DWORD
	v_add_co_u32 v96, vcc_lo, v56, s18
	v_add_co_ci_u32_e64 v97, null, s19, v57, vcc_lo
	v_pk_fma_f16 v21, v21, v101, v102
	v_pk_fma_f16 v22, v22, v101, v103
	;; [unrolled: 1-line block ×8, first 2 shown]
	v_mul_u32_u24_sdwa v102, v3, v59 dst_sel:DWORD dst_unused:UNUSED_PAD src0_sel:WORD_0 src1_sel:DWORD
	v_pk_fma_f16 v21, v29, v2, v21
	v_pk_fma_f16 v22, v30, v2, v22
	;; [unrolled: 1-line block ×8, first 2 shown]
	v_mul_u32_u24_sdwa v3, v3, v59 dst_sel:DWORD dst_unused:UNUSED_PAD src0_sel:WORD_1 src1_sel:DWORD
	v_pk_fma_f16 v2, v72, v102, v21
	v_pk_fma_f16 v21, v73, v102, v22
	;; [unrolled: 1-line block ×8, first 2 shown]
	v_mul_u32_u24_sdwa v103, v4, v59 dst_sel:DWORD dst_unused:UNUSED_PAD src0_sel:WORD_0 src1_sel:DWORD
	v_pk_fma_f16 v2, v80, v3, v2
	v_pk_fma_f16 v21, v81, v3, v21
	;; [unrolled: 1-line block ×8, first 2 shown]
	v_mul_u32_u24_sdwa v4, v4, v59 dst_sel:DWORD dst_unused:UNUSED_PAD src0_sel:WORD_1 src1_sel:DWORD
	v_pk_fma_f16 v2, v88, v103, v2
	v_pk_fma_f16 v3, v89, v103, v21
	;; [unrolled: 1-line block ×8, first 2 shown]
	s_mul_hi_i32 s19, s13, s8
	v_pk_fma_f16 v98, v9, v4, v5
	v_pk_fma_f16 v99, v10, v4, v6
	;; [unrolled: 1-line block ×4, first 2 shown]
	s_mul_i32 s18, s13, s8
	s_waitcnt vmcnt(1)
	ds_write_b128 v53, v[17:20]
	s_waitcnt vmcnt(0)
	ds_write_b128 v54, v[92:95]
	s_waitcnt lgkmcnt(0)
	s_barrier
	buffer_gl0_inv
	ds_read_b128 v[72:75], v51 offset:80
	ds_read2_b64 v[33:36], v55 offset1:32
	ds_read2_b64 v[76:79], v55 offset0:64 offset1:96
	v_pk_fma_f16 v92, v13, v4, v2
	v_pk_fma_f16 v93, v14, v4, v3
	;; [unrolled: 1-line block ×4, first 2 shown]
	ds_read2_b64 v[80:83], v55 offset0:128 offset1:160
	ds_read2_b64 v[84:87], v55 offset0:192 offset1:224
	ds_read2_b64 v[88:91], v67 offset1:32
	ds_read2_b64 v[5:8], v67 offset0:64 offset1:96
	ds_read2_b64 v[1:4], v67 offset0:128 offset1:160
	;; [unrolled: 1-line block ×3, first 2 shown]
	ds_read2_b64 v[13:16], v66 offset1:32
	ds_read2_b64 v[17:20], v66 offset0:64 offset1:96
	ds_read2_b64 v[21:24], v66 offset0:128 offset1:160
	;; [unrolled: 1-line block ×3, first 2 shown]
	ds_read2_b64 v[29:32], v69 offset1:32
	s_lshl_b64 s[18:19], s[18:19], 2
	s_waitcnt lgkmcnt(13)
	v_mul_u32_u24_sdwa v102, v72, v59 dst_sel:DWORD dst_unused:UNUSED_PAD src0_sel:WORD_0 src1_sel:DWORD
	v_mul_u32_u24_sdwa v72, v72, v59 dst_sel:DWORD dst_unused:UNUSED_PAD src0_sel:WORD_1 src1_sel:DWORD
	s_waitcnt lgkmcnt(12)
	v_pk_fma_f16 v92, v33, v102, v92
	v_pk_fma_f16 v93, v34, v102, v93
	v_pk_fma_f16 v94, v35, v102, v94
	v_pk_fma_f16 v95, v36, v102, v95
	s_waitcnt lgkmcnt(11)
	v_pk_fma_f16 v98, v76, v102, v98
	v_pk_fma_f16 v99, v77, v102, v99
	;; [unrolled: 1-line block ×4, first 2 shown]
	ds_read2_b64 v[33:36], v69 offset0:64 offset1:96
	ds_read2_b64 v[76:79], v69 offset0:128 offset1:160
	s_waitcnt lgkmcnt(12)
	v_pk_fma_f16 v102, v80, v72, v92
	v_pk_fma_f16 v103, v81, v72, v93
	v_pk_fma_f16 v104, v82, v72, v94
	v_pk_fma_f16 v105, v83, v72, v95
	ds_read2_b64 v[80:83], v69 offset0:192 offset1:224
	s_waitcnt lgkmcnt(0)
	s_barrier
	buffer_gl0_inv
	v_pk_fma_f16 v98, v84, v72, v98
	v_pk_fma_f16 v99, v85, v72, v99
	;; [unrolled: 1-line block ×4, first 2 shown]
	s_clause 0x1
	global_load_dwordx4 v[84:87], v[96:97], off
	global_load_dwordx4 v[92:95], v[96:97], off offset:512
	v_mul_u32_u24_sdwa v96, v73, v59 dst_sel:DWORD dst_unused:UNUSED_PAD src0_sel:WORD_0 src1_sel:DWORD
	v_mul_u32_u24_sdwa v73, v73, v59 dst_sel:DWORD dst_unused:UNUSED_PAD src0_sel:WORD_1 src1_sel:DWORD
	s_waitcnt vmcnt(1)
	ds_write_b128 v53, v[84:87]
	s_waitcnt vmcnt(0)
	ds_write_b128 v54, v[92:95]
	v_pk_fma_f16 v97, v88, v96, v102
	v_pk_fma_f16 v101, v89, v96, v103
	;; [unrolled: 1-line block ×4, first 2 shown]
	v_mul_u32_u24_sdwa v102, v74, v59 dst_sel:DWORD dst_unused:UNUSED_PAD src0_sel:WORD_0 src1_sel:DWORD
	v_pk_fma_f16 v1, v1, v73, v97
	v_mul_u32_u24_sdwa v74, v74, v59 dst_sel:DWORD dst_unused:UNUSED_PAD src0_sel:WORD_1 src1_sel:DWORD
	v_pk_fma_f16 v2, v2, v73, v101
	v_pk_fma_f16 v3, v3, v73, v90
	;; [unrolled: 1-line block ×4, first 2 shown]
	v_mul_u32_u24_sdwa v103, v75, v59 dst_sel:DWORD dst_unused:UNUSED_PAD src0_sel:WORD_0 src1_sel:DWORD
	v_pk_fma_f16 v5, v5, v96, v98
	v_pk_fma_f16 v6, v6, v96, v99
	;; [unrolled: 1-line block ×8, first 2 shown]
	v_mul_u32_u24_sdwa v75, v75, v59 dst_sel:DWORD dst_unused:UNUSED_PAD src0_sel:WORD_1 src1_sel:DWORD
	v_pk_fma_f16 v5, v9, v73, v5
	v_pk_fma_f16 v6, v10, v73, v6
	;; [unrolled: 1-line block ×16, first 2 shown]
	s_waitcnt lgkmcnt(0)
	s_barrier
	buffer_gl0_inv
	ds_read_b128 v[1:4], v51 offset:96
	v_pk_fma_f16 v5, v25, v74, v5
	v_pk_fma_f16 v6, v26, v74, v6
	;; [unrolled: 1-line block ×15, first 2 shown]
	ds_read2_b64 v[5:8], v55 offset1:32
	ds_read2_b64 v[9:12], v55 offset0:64 offset1:96
	ds_read2_b64 v[13:16], v55 offset0:128 offset1:160
	ds_read2_b64 v[17:20], v55 offset0:192 offset1:224
	ds_read2_b64 v[21:24], v67 offset1:32
	ds_read2_b64 v[25:28], v67 offset0:64 offset1:96
	ds_read2_b64 v[29:32], v67 offset0:128 offset1:160
	ds_read2_b64 v[33:36], v67 offset0:192 offset1:224
	ds_read2_b64 v[71:74], v66 offset1:32
	ds_read2_b64 v[75:78], v66 offset0:64 offset1:96
	ds_read2_b64 v[79:82], v66 offset0:128 offset1:160
	ds_read2_b64 v[83:86], v66 offset0:192 offset1:224
	v_add_co_u32 v88, vcc_lo, v56, s18
	v_add_co_ci_u32_e64 v89, null, s19, v57, vcc_lo
	s_waitcnt lgkmcnt(12)
	v_mul_u32_u24_sdwa v97, v1, v59 dst_sel:DWORD dst_unused:UNUSED_PAD src0_sel:WORD_0 src1_sel:DWORD
	v_mul_u32_u24_sdwa v98, v1, v59 dst_sel:DWORD dst_unused:UNUSED_PAD src0_sel:WORD_1 src1_sel:DWORD
	v_mul_u32_u24_sdwa v99, v2, v59 dst_sel:DWORD dst_unused:UNUSED_PAD src0_sel:WORD_0 src1_sel:DWORD
	v_mul_u32_u24_sdwa v100, v2, v59 dst_sel:DWORD dst_unused:UNUSED_PAD src0_sel:WORD_1 src1_sel:DWORD
	v_mul_u32_u24_sdwa v101, v3, v59 dst_sel:DWORD dst_unused:UNUSED_PAD src0_sel:WORD_0 src1_sel:DWORD
	s_waitcnt lgkmcnt(11)
	v_pk_fma_f16 v90, v5, v97, v90
	v_pk_fma_f16 v87, v6, v97, v87
	;; [unrolled: 1-line block ×4, first 2 shown]
	s_waitcnt lgkmcnt(10)
	v_pk_fma_f16 v93, v9, v97, v93
	v_pk_fma_f16 v94, v10, v97, v94
	;; [unrolled: 1-line block ×4, first 2 shown]
	v_mul_u32_u24_sdwa v102, v3, v59 dst_sel:DWORD dst_unused:UNUSED_PAD src0_sel:WORD_1 src1_sel:DWORD
	v_mul_u32_u24_sdwa v103, v4, v59 dst_sel:DWORD dst_unused:UNUSED_PAD src0_sel:WORD_0 src1_sel:DWORD
	v_mul_u32_u24_sdwa v104, v4, v59 dst_sel:DWORD dst_unused:UNUSED_PAD src0_sel:WORD_1 src1_sel:DWORD
	ds_read2_b64 v[1:4], v69 offset1:32
	ds_read2_b64 v[5:8], v69 offset0:64 offset1:96
	ds_read2_b64 v[9:12], v69 offset0:128 offset1:160
	s_waitcnt lgkmcnt(12)
	v_pk_fma_f16 v97, v13, v98, v90
	v_pk_fma_f16 v105, v14, v98, v87
	;; [unrolled: 1-line block ×4, first 2 shown]
	ds_read2_b64 v[13:16], v69 offset0:192 offset1:224
	s_waitcnt lgkmcnt(0)
	s_barrier
	buffer_gl0_inv
	v_pk_fma_f16 v93, v17, v98, v93
	v_pk_fma_f16 v94, v18, v98, v94
	;; [unrolled: 1-line block ×4, first 2 shown]
	s_clause 0x1
	global_load_dwordx4 v[17:20], v[88:89], off
	global_load_dwordx4 v[87:90], v[88:89], off offset:512
	v_pk_fma_f16 v21, v21, v99, v97
	v_pk_fma_f16 v22, v22, v99, v105
	;; [unrolled: 1-line block ×45, first 2 shown]
	s_waitcnt vmcnt(1)
	ds_write_b128 v53, v[17:20]
	s_waitcnt vmcnt(0)
	ds_write_b128 v54, v[87:90]
	s_waitcnt lgkmcnt(0)
	s_barrier
	buffer_gl0_inv
	ds_read_b128 v[1:4], v51 offset:112
	v_pk_fma_f16 v17, v8, v103, v28
	ds_read2_b64 v[5:8], v55 offset1:32
	v_pk_fma_f16 v103, v13, v104, v25
	v_pk_fma_f16 v104, v16, v104, v17
	ds_read2_b64 v[9:12], v55 offset0:64 offset1:96
	ds_read2_b64 v[13:16], v55 offset0:128 offset1:160
	ds_read2_b64 v[17:20], v55 offset0:192 offset1:224
	ds_read2_b64 v[21:24], v67 offset1:32
	ds_read2_b64 v[25:28], v67 offset0:64 offset1:96
	ds_read2_b64 v[29:32], v67 offset0:128 offset1:160
	ds_read2_b64 v[33:36], v67 offset0:192 offset1:224
	ds_read2_b64 v[71:74], v66 offset1:32
	;; [unrolled: 4-line block ×3, first 2 shown]
	ds_read2_b64 v[91:94], v69 offset0:64 offset1:96
	s_waitcnt lgkmcnt(14)
	v_mul_u32_u24_sdwa v67, v1, v59 dst_sel:DWORD dst_unused:UNUSED_PAD src0_sel:WORD_0 src1_sel:DWORD
	v_mul_u32_u24_sdwa v1, v1, v59 dst_sel:DWORD dst_unused:UNUSED_PAD src0_sel:WORD_1 src1_sel:DWORD
	v_mul_u32_u24_sdwa v60, v2, v59 dst_sel:DWORD dst_unused:UNUSED_PAD src0_sel:WORD_0 src1_sel:DWORD
	v_mul_u32_u24_sdwa v2, v2, v59 dst_sel:DWORD dst_unused:UNUSED_PAD src0_sel:WORD_1 src1_sel:DWORD
	v_mul_u32_u24_sdwa v66, v3, v59 dst_sel:DWORD dst_unused:UNUSED_PAD src0_sel:WORD_0 src1_sel:DWORD
	s_waitcnt lgkmcnt(13)
	v_pk_fma_f16 v5, v5, v67, v95
	v_pk_fma_f16 v6, v6, v67, v96
	v_pk_fma_f16 v7, v7, v67, v97
	v_pk_fma_f16 v8, v8, v67, v98
	s_waitcnt lgkmcnt(12)
	v_pk_fma_f16 v9, v9, v67, v103
	v_pk_fma_f16 v10, v10, v67, v105
	v_pk_fma_f16 v11, v11, v67, v106
	v_pk_fma_f16 v12, v12, v67, v104
	;; [unrolled: 5-line block ×6, first 2 shown]
	ds_read2_b64 v[95:98], v69 offset0:128 offset1:160
	ds_read2_b64 v[99:102], v69 offset0:192 offset1:224
	s_waitcnt lgkmcnt(0)
	s_barrier
	buffer_gl0_inv
	s_load_dword s13, s[0:1], 0x4
	v_pk_fma_f16 v5, v29, v2, v5
	v_pk_fma_f16 v6, v30, v2, v6
	;; [unrolled: 1-line block ×8, first 2 shown]
	v_mul_u32_u24_sdwa v3, v3, v59 dst_sel:DWORD dst_unused:UNUSED_PAD src0_sel:WORD_1 src1_sel:DWORD
	v_pk_fma_f16 v2, v71, v66, v5
	v_pk_fma_f16 v5, v72, v66, v6
	;; [unrolled: 1-line block ×8, first 2 shown]
	v_mul_u32_u24_sdwa v67, v4, v59 dst_sel:DWORD dst_unused:UNUSED_PAD src0_sel:WORD_0 src1_sel:DWORD
	v_pk_fma_f16 v2, v79, v3, v2
	v_pk_fma_f16 v5, v80, v3, v5
	;; [unrolled: 1-line block ×8, first 2 shown]
	v_mul_u32_u24_sdwa v4, v4, v59 dst_sel:DWORD dst_unused:UNUSED_PAD src0_sel:WORD_1 src1_sel:DWORD
	v_pk_fma_f16 v2, v87, v67, v2
	v_pk_fma_f16 v3, v88, v67, v5
	;; [unrolled: 1-line block ×8, first 2 shown]
	s_waitcnt lgkmcnt(0)
	s_lshl_b32 s13, s13, 6
	v_pk_fma_f16 v6, v95, v4, v2
	v_pk_fma_f16 v5, v96, v4, v3
	;; [unrolled: 1-line block ×8, first 2 shown]
	s_add_i32 s6, s13, s6
	s_cmp_ge_i32 s6, s30
	s_cbranch_scc1 .LBB27_21
; %bb.20:                               ;   in Loop: Header=BB27_11 Depth=1
	v_mov_b32_e32 v13, v43
	v_mov_b32_e32 v60, v70
	s_branch .LBB27_11
.LBB27_21:
	v_mov_b32_e32 v2, 32
	v_mov_b32_e32 v3, v47
.LBB27_22:
	v_cmp_lt_i32_e32 vcc_lo, v62, v2
	s_cmp_lg_u64 s[16:17], 0
	s_cselect_b32 s0, -1, 0
	s_cmp_eq_u32 s28, 0
	v_cndmask_b32_e32 v1, v3, v62, vcc_lo
	v_cmp_lt_i32_e32 vcc_lo, v61, v2
	s_cselect_b32 s1, -1, 0
	s_and_b32 s0, s1, s0
	v_lshlrev_b32_e32 v1, 2, v1
	v_cndmask_b32_e32 v4, v3, v61, vcc_lo
	v_cmp_lt_i32_e32 vcc_lo, v63, v2
	ds_bpermute_b32 v1, v1, v70
	v_lshlrev_b32_e32 v4, 2, v4
	v_cndmask_b32_e32 v13, v3, v63, vcc_lo
	v_cmp_lt_i32_e32 vcc_lo, v64, v2
	v_lshlrev_b32_e32 v13, 2, v13
	s_waitcnt lgkmcnt(0)
	v_add_f32_e32 v1, v70, v1
	ds_bpermute_b32 v4, v4, v1
	s_waitcnt lgkmcnt(0)
	v_add_f32_e32 v1, v1, v4
	ds_bpermute_b32 v4, v13, v1
	v_cndmask_b32_e32 v13, v3, v64, vcc_lo
	v_cmp_lt_i32_e32 vcc_lo, v65, v2
	v_lshlrev_b32_e32 v13, 2, v13
	v_cndmask_b32_e32 v2, v3, v65, vcc_lo
	s_and_b32 vcc_lo, exec_lo, s0
	v_lshlrev_b32_e32 v2, 2, v2
	s_waitcnt lgkmcnt(0)
	v_add_f32_e32 v1, v1, v4
	ds_bpermute_b32 v4, v13, v1
	s_waitcnt lgkmcnt(0)
	v_add_f32_e32 v1, v1, v4
	ds_bpermute_b32 v2, v2, v1
	s_waitcnt lgkmcnt(0)
	v_add_f32_e32 v44, v1, v2
	s_cbranch_vccz .LBB27_24
; %bb.23:
	v_add_nc_u32_e32 v1, s29, v45
	v_ashrrev_i32_e32 v2, 31, v1
	v_lshlrev_b64 v[1:2], 2, v[1:2]
	v_add_co_u32 v1, vcc_lo, s16, v1
	v_add_co_ci_u32_e64 v2, null, s17, v2, vcc_lo
	global_load_dword v1, v[1:2], off
	v_max_f32_e32 v2, v43, v43
	s_waitcnt vmcnt(0)
	v_max_f32_e32 v3, v1, v1
	v_max_f32_e32 v2, v2, v3
	v_sub_f32_e32 v3, v43, v2
	v_sub_f32_e32 v1, v1, v2
	v_mov_b32_e32 v43, v2
	v_mul_f32_e32 v4, 0x3fb8aa3b, v3
	v_mul_f32_e32 v13, 0x3fb8aa3b, v1
	v_cmp_ngt_f32_e32 vcc_lo, 0xc2ce8ed0, v3
	v_fma_f32 v14, 0x3fb8aa3b, v3, -v4
	v_rndne_f32_e32 v15, v4
	v_fma_f32 v16, 0x3fb8aa3b, v1, -v13
	v_rndne_f32_e32 v17, v13
	v_fmac_f32_e32 v14, 0x32a5705f, v3
	v_sub_f32_e32 v4, v4, v15
	v_fmac_f32_e32 v16, 0x32a5705f, v1
	v_sub_f32_e32 v13, v13, v17
	v_add_f32_e32 v4, v4, v14
	v_cvt_i32_f32_e32 v14, v15
	v_add_f32_e32 v13, v13, v16
	v_cvt_i32_f32_e32 v15, v17
	v_exp_f32_e32 v4, v4
	v_exp_f32_e32 v13, v13
	v_ldexp_f32 v4, v4, v14
	v_ldexp_f32 v13, v13, v15
	v_cndmask_b32_e32 v4, 0, v4, vcc_lo
	v_cmp_ngt_f32_e32 vcc_lo, 0xc2ce8ed0, v1
	v_cndmask_b32_e32 v13, 0, v13, vcc_lo
	v_cmp_nlt_f32_e32 vcc_lo, 0x42b17218, v3
	v_cndmask_b32_e32 v3, 0x7f800000, v4, vcc_lo
	v_cmp_nlt_f32_e32 vcc_lo, 0x42b17218, v1
	v_mov_b32_e32 v4, 0x10001
	v_cndmask_b32_e32 v1, 0x7f800000, v13, vcc_lo
	v_cvt_f16_f32_e32 v13, v3
	v_fmac_f32_e32 v1, v44, v3
	v_mul_u32_u24_sdwa v3, v13, v4 dst_sel:DWORD dst_unused:UNUSED_PAD src0_sel:WORD_0 src1_sel:DWORD
	v_mov_b32_e32 v44, v1
	v_pk_mul_f16 v6, v6, v3
	v_pk_mul_f16 v5, v5, v3
	;; [unrolled: 1-line block ×8, first 2 shown]
.LBB27_24:
	s_mov_b32 s0, exec_lo
	v_cmpx_gt_i32_e64 s2, v37
	s_cbranch_execz .LBB27_27
; %bb.25:
	v_div_scale_f32 v3, null, v44, v44, 1.0
	v_mad_u64_u32 v[1:2], null, s7, s2, v[37:38]
	s_load_dword s1, s[4:5], 0xd4
	v_rcp_f32_e32 v4, v3
	v_div_scale_f32 v13, vcc_lo, 1.0, v44, 1.0
	v_cmp_eq_u32_e64 s0, 0, v0
	v_cvt_f32_f16_sdwa v15, v5 dst_sel:DWORD dst_unused:UNUSED_PAD src0_sel:WORD_1
	v_mul_lo_u32 v1, v1, s3
	v_cvt_f32_f16_e32 v16, v5
	v_cvt_f32_f16_sdwa v21, v6 dst_sel:DWORD dst_unused:UNUSED_PAD src0_sel:WORD_1
	v_cvt_f32_f16_e32 v22, v6
	v_mov_b32_e32 v6, 0
	v_fma_f32 v2, -v3, v4, 1.0
	v_cvt_f32_f16_sdwa v29, v9 dst_sel:DWORD dst_unused:UNUSED_PAD src0_sel:WORD_1
	v_cvt_f32_f16_e32 v30, v9
	v_add3_u32 v0, s29, v45, v1
	v_mov_b32_e32 v14, v6
	v_fmac_f32_e32 v4, v2, v4
	v_mov_b32_e32 v2, v6
	v_cvt_f32_f16_sdwa v23, v12 dst_sel:DWORD dst_unused:UNUSED_PAD src0_sel:WORD_1
	v_cvt_f32_f16_e32 v24, v12
	s_waitcnt lgkmcnt(0)
	v_mad_u64_u32 v[0:1], null, s1, v0, s[28:29]
	v_mul_f32_e32 v17, v13, v4
	s_cmp_lg_u32 s1, 1
	v_cvt_f32_f16_sdwa v25, v11 dst_sel:DWORD dst_unused:UNUSED_PAD src0_sel:WORD_1
	s_cselect_b32 s1, -1, 0
	v_cvt_f32_f16_e32 v26, v11
	v_fma_f32 v1, -v3, v17, v13
	v_lshl_add_u32 v5, v0, 9, v46
	v_cvt_f32_f16_sdwa v27, v10 dst_sel:DWORD dst_unused:UNUSED_PAD src0_sel:WORD_1
	v_cvt_f32_f16_e32 v28, v10
	s_and_b32 s0, s0, s1
	v_fmac_f32_e32 v17, v1, v4
	v_add_nc_u32_e32 v1, 0x80, v5
	v_fma_f32 v3, -v3, v17, v13
	v_lshlrev_b64 v[1:2], 2, v[1:2]
	v_add_nc_u32_e32 v13, 0x100, v5
	v_div_fmas_f32 v9, v3, v4, v17
	v_lshlrev_b64 v[3:4], 2, v[5:6]
	v_add_nc_u32_e32 v5, 0x180, v5
	v_div_fixup_f32 v9, v9, v44, 1.0
	v_add_co_u32 v17, vcc_lo, s20, v3
	v_add_co_ci_u32_e64 v18, null, s21, v4, vcc_lo
	v_cndmask_b32_e64 v31, v9, 1.0, s1
	v_add_co_u32 v19, vcc_lo, s20, v1
	v_add_co_ci_u32_e64 v20, null, s21, v2, vcc_lo
	v_mul_f32_e32 v2, v31, v21
	v_mul_f32_e32 v1, v31, v22
	v_lshlrev_b64 v[21:22], 2, v[13:14]
	v_mul_f32_e32 v12, v31, v23
	v_mul_f32_e32 v11, v31, v24
	v_lshlrev_b64 v[23:24], 2, v[5:6]
	v_mul_f32_e32 v3, v31, v16
	v_mul_f32_e32 v10, v31, v25
	;; [unrolled: 1-line block ×4, first 2 shown]
	v_cvt_f32_f16_sdwa v25, v7 dst_sel:DWORD dst_unused:UNUSED_PAD src0_sel:WORD_1
	v_cvt_f32_f16_e32 v7, v7
	v_cvt_f32_f16_sdwa v26, v8 dst_sel:DWORD dst_unused:UNUSED_PAD src0_sel:WORD_1
	v_cvt_f32_f16_e32 v27, v8
	v_add_co_u32 v21, vcc_lo, s20, v21
	v_mul_f32_e32 v4, v31, v15
	v_add_co_ci_u32_e64 v22, null, s21, v22, vcc_lo
	v_add_co_u32 v23, vcc_lo, s20, v23
	v_mul_f32_e32 v15, v31, v28
	v_mul_f32_e32 v14, v31, v29
	;; [unrolled: 1-line block ×7, first 2 shown]
	v_add_co_ci_u32_e64 v24, null, s21, v24, vcc_lo
	global_store_dwordx4 v[17:18], v[1:4], off
	global_store_dwordx4 v[19:20], v[9:12], off
	;; [unrolled: 1-line block ×4, first 2 shown]
	s_and_b32 exec_lo, exec_lo, s0
	s_cbranch_execz .LBB27_27
; %bb.26:
	v_ashrrev_i32_e32 v1, 31, v0
	v_lshlrev_b64 v[0:1], 3, v[0:1]
	v_add_co_u32 v0, vcc_lo, s22, v0
	v_add_co_ci_u32_e64 v1, null, s23, v1, vcc_lo
	global_store_dwordx2 v[0:1], v[43:44], off
.LBB27_27:
	s_endpgm
	.section	.rodata,"a",@progbits
	.p2align	6, 0x0
	.amdhsa_kernel _ZL15flash_attn_tileILi576ELi512ELi2ELi4ELb1EEvPKcS1_S1_S1_S1_PKiPfP15HIP_vector_typeIfLj2EEffffjfiS5_IjLj3EEiiiiiiiiiiiliiliiiiil
		.amdhsa_group_segment_fixed_size 19456
		.amdhsa_private_segment_fixed_size 0
		.amdhsa_kernarg_size 464
		.amdhsa_user_sgpr_count 6
		.amdhsa_user_sgpr_private_segment_buffer 1
		.amdhsa_user_sgpr_dispatch_ptr 0
		.amdhsa_user_sgpr_queue_ptr 0
		.amdhsa_user_sgpr_kernarg_segment_ptr 1
		.amdhsa_user_sgpr_dispatch_id 0
		.amdhsa_user_sgpr_flat_scratch_init 0
		.amdhsa_user_sgpr_private_segment_size 0
		.amdhsa_wavefront_size32 1
		.amdhsa_uses_dynamic_stack 0
		.amdhsa_system_sgpr_private_segment_wavefront_offset 0
		.amdhsa_system_sgpr_workgroup_id_x 1
		.amdhsa_system_sgpr_workgroup_id_y 1
		.amdhsa_system_sgpr_workgroup_id_z 1
		.amdhsa_system_sgpr_workgroup_info 0
		.amdhsa_system_vgpr_workitem_id 1
		.amdhsa_next_free_vgpr 107
		.amdhsa_next_free_sgpr 40
		.amdhsa_reserve_vcc 1
		.amdhsa_reserve_flat_scratch 0
		.amdhsa_float_round_mode_32 0
		.amdhsa_float_round_mode_16_64 0
		.amdhsa_float_denorm_mode_32 3
		.amdhsa_float_denorm_mode_16_64 3
		.amdhsa_dx10_clamp 1
		.amdhsa_ieee_mode 1
		.amdhsa_fp16_overflow 0
		.amdhsa_workgroup_processor_mode 1
		.amdhsa_memory_ordered 1
		.amdhsa_forward_progress 1
		.amdhsa_shared_vgpr_count 0
		.amdhsa_exception_fp_ieee_invalid_op 0
		.amdhsa_exception_fp_denorm_src 0
		.amdhsa_exception_fp_ieee_div_zero 0
		.amdhsa_exception_fp_ieee_overflow 0
		.amdhsa_exception_fp_ieee_underflow 0
		.amdhsa_exception_fp_ieee_inexact 0
		.amdhsa_exception_int_div_zero 0
	.end_amdhsa_kernel
	.section	.text._ZL15flash_attn_tileILi576ELi512ELi2ELi4ELb1EEvPKcS1_S1_S1_S1_PKiPfP15HIP_vector_typeIfLj2EEffffjfiS5_IjLj3EEiiiiiiiiiiiliiliiiiil,"axG",@progbits,_ZL15flash_attn_tileILi576ELi512ELi2ELi4ELb1EEvPKcS1_S1_S1_S1_PKiPfP15HIP_vector_typeIfLj2EEffffjfiS5_IjLj3EEiiiiiiiiiiiliiliiiiil,comdat
.Lfunc_end27:
	.size	_ZL15flash_attn_tileILi576ELi512ELi2ELi4ELb1EEvPKcS1_S1_S1_S1_PKiPfP15HIP_vector_typeIfLj2EEffffjfiS5_IjLj3EEiiiiiiiiiiiliiliiiiil, .Lfunc_end27-_ZL15flash_attn_tileILi576ELi512ELi2ELi4ELb1EEvPKcS1_S1_S1_S1_PKiPfP15HIP_vector_typeIfLj2EEffffjfiS5_IjLj3EEiiiiiiiiiiiliiliiiiil
                                        ; -- End function
	.set _ZL15flash_attn_tileILi576ELi512ELi2ELi4ELb1EEvPKcS1_S1_S1_S1_PKiPfP15HIP_vector_typeIfLj2EEffffjfiS5_IjLj3EEiiiiiiiiiiiliiliiiiil.num_vgpr, 107
	.set _ZL15flash_attn_tileILi576ELi512ELi2ELi4ELb1EEvPKcS1_S1_S1_S1_PKiPfP15HIP_vector_typeIfLj2EEffffjfiS5_IjLj3EEiiiiiiiiiiiliiliiiiil.num_agpr, 0
	.set _ZL15flash_attn_tileILi576ELi512ELi2ELi4ELb1EEvPKcS1_S1_S1_S1_PKiPfP15HIP_vector_typeIfLj2EEffffjfiS5_IjLj3EEiiiiiiiiiiiliiliiiiil.numbered_sgpr, 40
	.set _ZL15flash_attn_tileILi576ELi512ELi2ELi4ELb1EEvPKcS1_S1_S1_S1_PKiPfP15HIP_vector_typeIfLj2EEffffjfiS5_IjLj3EEiiiiiiiiiiiliiliiiiil.num_named_barrier, 0
	.set _ZL15flash_attn_tileILi576ELi512ELi2ELi4ELb1EEvPKcS1_S1_S1_S1_PKiPfP15HIP_vector_typeIfLj2EEffffjfiS5_IjLj3EEiiiiiiiiiiiliiliiiiil.private_seg_size, 0
	.set _ZL15flash_attn_tileILi576ELi512ELi2ELi4ELb1EEvPKcS1_S1_S1_S1_PKiPfP15HIP_vector_typeIfLj2EEffffjfiS5_IjLj3EEiiiiiiiiiiiliiliiiiil.uses_vcc, 1
	.set _ZL15flash_attn_tileILi576ELi512ELi2ELi4ELb1EEvPKcS1_S1_S1_S1_PKiPfP15HIP_vector_typeIfLj2EEffffjfiS5_IjLj3EEiiiiiiiiiiiliiliiiiil.uses_flat_scratch, 0
	.set _ZL15flash_attn_tileILi576ELi512ELi2ELi4ELb1EEvPKcS1_S1_S1_S1_PKiPfP15HIP_vector_typeIfLj2EEffffjfiS5_IjLj3EEiiiiiiiiiiiliiliiiiil.has_dyn_sized_stack, 0
	.set _ZL15flash_attn_tileILi576ELi512ELi2ELi4ELb1EEvPKcS1_S1_S1_S1_PKiPfP15HIP_vector_typeIfLj2EEffffjfiS5_IjLj3EEiiiiiiiiiiiliiliiiiil.has_recursion, 0
	.set _ZL15flash_attn_tileILi576ELi512ELi2ELi4ELb1EEvPKcS1_S1_S1_S1_PKiPfP15HIP_vector_typeIfLj2EEffffjfiS5_IjLj3EEiiiiiiiiiiiliiliiiiil.has_indirect_call, 0
	.section	.AMDGPU.csdata,"",@progbits
; Kernel info:
; codeLenInByte = 25360
; TotalNumSgprs: 42
; NumVgprs: 107
; ScratchSize: 0
; MemoryBound: 0
; FloatMode: 240
; IeeeMode: 1
; LDSByteSize: 19456 bytes/workgroup (compile time only)
; SGPRBlocks: 0
; VGPRBlocks: 13
; NumSGPRsForWavesPerEU: 42
; NumVGPRsForWavesPerEU: 107
; Occupancy: 9
; WaveLimiterHint : 1
; COMPUTE_PGM_RSRC2:SCRATCH_EN: 0
; COMPUTE_PGM_RSRC2:USER_SGPR: 6
; COMPUTE_PGM_RSRC2:TRAP_HANDLER: 0
; COMPUTE_PGM_RSRC2:TGID_X_EN: 1
; COMPUTE_PGM_RSRC2:TGID_Y_EN: 1
; COMPUTE_PGM_RSRC2:TGID_Z_EN: 1
; COMPUTE_PGM_RSRC2:TIDIG_COMP_CNT: 1
	.section	.text._ZL15flash_attn_tileILi576ELi512ELi1ELi4ELb1EEvPKcS1_S1_S1_S1_PKiPfP15HIP_vector_typeIfLj2EEffffjfiS5_IjLj3EEiiiiiiiiiiiliiliiiiil,"axG",@progbits,_ZL15flash_attn_tileILi576ELi512ELi1ELi4ELb1EEvPKcS1_S1_S1_S1_PKiPfP15HIP_vector_typeIfLj2EEffffjfiS5_IjLj3EEiiiiiiiiiiiliiliiiiil,comdat
	.globl	_ZL15flash_attn_tileILi576ELi512ELi1ELi4ELb1EEvPKcS1_S1_S1_S1_PKiPfP15HIP_vector_typeIfLj2EEffffjfiS5_IjLj3EEiiiiiiiiiiiliiliiiiil ; -- Begin function _ZL15flash_attn_tileILi576ELi512ELi1ELi4ELb1EEvPKcS1_S1_S1_S1_PKiPfP15HIP_vector_typeIfLj2EEffffjfiS5_IjLj3EEiiiiiiiiiiiliiliiiiil
	.p2align	8
	.type	_ZL15flash_attn_tileILi576ELi512ELi1ELi4ELb1EEvPKcS1_S1_S1_S1_PKiPfP15HIP_vector_typeIfLj2EEffffjfiS5_IjLj3EEiiiiiiiiiiiliiliiiiil,@function
_ZL15flash_attn_tileILi576ELi512ELi1ELi4ELb1EEvPKcS1_S1_S1_S1_PKiPfP15HIP_vector_typeIfLj2EEffffjfiS5_IjLj3EEiiiiiiiiiiiliiliiiiil: ; @_ZL15flash_attn_tileILi576ELi512ELi1ELi4ELb1EEvPKcS1_S1_S1_S1_PKiPfP15HIP_vector_typeIfLj2EEffffjfiS5_IjLj3EEiiiiiiiiiiiliiliiiiil
; %bb.0:
	s_clause 0x1
	s_load_dwordx4 s[0:3], s[4:5], 0x5c
	s_load_dwordx2 s[30:31], s[4:5], 0x80
	s_mov_b32 s28, s7
	s_mov_b64 s[34:35], 0
	s_waitcnt lgkmcnt(0)
	s_ashr_i32 s7, s3, 31
	s_lshr_b32 s7, s7, 30
	s_add_i32 s7, s3, s7
	s_ashr_i32 s7, s7, 2
	v_cvt_f32_u32_e32 v2, s7
	s_sub_i32 s10, 0, s7
	v_rcp_iflag_f32_e32 v2, v2
	v_mul_f32_e32 v2, 0x4f7ffffe, v2
	v_cvt_u32_f32_e32 v2, v2
	v_readfirstlane_b32 s9, v2
	s_mul_i32 s10, s10, s9
	s_mul_hi_u32 s10, s9, s10
	s_add_i32 s9, s9, s10
	s_mul_hi_u32 s9, s8, s9
	s_mul_i32 s10, s9, s7
	s_add_i32 s11, s9, 1
	s_sub_i32 s10, s8, s10
	s_sub_i32 s12, s10, s7
	s_cmp_ge_u32 s10, s7
	s_cselect_b32 s9, s11, s9
	s_cselect_b32 s10, s12, s10
	s_add_i32 s11, s9, 1
	s_cmp_ge_u32 s10, s7
	s_cselect_b32 s7, s11, s9
	s_abs_i32 s9, s31
	s_lshl_b32 s8, s8, 2
	v_cvt_f32_u32_e32 v2, s9
	s_sub_i32 s11, 0, s9
	s_mul_i32 s12, s7, s3
	s_abs_i32 s13, s3
	s_sub_i32 s29, s8, s12
	v_rcp_iflag_f32_e32 v2, v2
	v_mul_f32_e32 v2, 0x4f7ffffe, v2
	v_cvt_u32_f32_e32 v2, v2
	v_readfirstlane_b32 s10, v2
	s_mul_i32 s11, s11, s10
	s_mul_hi_u32 s11, s10, s11
	s_add_i32 s10, s10, s11
	s_mul_hi_u32 s8, s13, s10
	s_xor_b32 s10, s3, s31
	s_mul_i32 s11, s8, s9
	s_ashr_i32 s10, s10, 31
	s_sub_i32 s11, s13, s11
	s_add_i32 s12, s8, 1
	s_sub_i32 s13, s11, s9
	s_cmp_ge_u32 s11, s9
	s_cselect_b32 s8, s12, s8
	s_cselect_b32 s11, s13, s11
	s_add_i32 s12, s8, 1
	s_cmp_ge_u32 s11, s9
	s_cselect_b32 s8, s12, s8
	s_xor_b32 s8, s8, s10
	s_sub_i32 s33, s8, s10
	s_clause 0x1
	s_load_dwordx16 s[8:23], s[4:5], 0x0
	s_load_dwordx2 s[36:37], s[4:5], 0xb8
	s_abs_i32 s31, s33
	v_cvt_f32_u32_e32 v2, s31
	v_rcp_iflag_f32_e32 v2, v2
	v_mul_f32_e32 v2, 0x4f7ffffe, v2
	s_waitcnt lgkmcnt(0)
	s_cmp_eq_u64 s[14:15], 0
	v_cvt_u32_f32_e32 v2, v2
	v_readfirstlane_b32 s38, v2
	s_cbranch_scc1 .LBB28_2
; %bb.1:
	s_abs_i32 s26, s36
	s_abs_i32 s27, s7
	v_cvt_f32_u32_e32 v2, s26
	s_sub_i32 s25, 0, s26
	v_rcp_iflag_f32_e32 v2, v2
	v_mul_f32_e32 v2, 0x4f7ffffe, v2
	v_cvt_u32_f32_e32 v2, v2
	v_readfirstlane_b32 s24, v2
	s_mul_i32 s25, s25, s24
	s_mul_hi_u32 s25, s24, s25
	s_add_i32 s24, s24, s25
	s_mul_hi_u32 s34, s27, s24
	s_load_dwordx2 s[24:25], s[4:5], 0xc8
	s_mul_i32 s34, s34, s26
	s_sub_i32 s27, s27, s34
	s_ashr_i32 s34, s7, 31
	s_sub_i32 s35, s27, s26
	s_cmp_ge_u32 s27, s26
	s_cselect_b32 s27, s35, s27
	s_sub_i32 s35, s27, s26
	s_cmp_ge_u32 s27, s26
	s_cselect_b32 s26, s35, s27
	s_xor_b32 s26, s26, s34
	s_sub_i32 s26, s26, s34
	s_ashr_i32 s27, s26, 31
	s_waitcnt lgkmcnt(0)
	s_mul_hi_u32 s34, s24, s26
	s_mul_i32 s27, s24, s27
	s_mul_i32 s25, s25, s26
	s_add_i32 s27, s34, s27
	s_mul_i32 s24, s24, s26
	s_add_i32 s27, s27, s25
	s_add_u32 s34, s14, s24
	s_addc_u32 s35, s15, s27
.LBB28_2:
	v_lshrrev_b32_e32 v2, 2, v1
	s_load_dwordx4 s[24:27], s[4:5], 0x70
	v_and_b32_e32 v48, 3, v1
	v_lshlrev_b32_e32 v50, 3, v0
	v_add_nc_u32_e32 v33, s6, v2
	v_mul_hi_u32 v2, s0, v33
	v_add_nc_u32_e32 v2, v33, v2
	s_waitcnt lgkmcnt(0)
	s_mul_i32 s14, s7, s26
	s_mov_b32 s0, s25
	v_lshrrev_b32_e32 v2, s1, v2
	s_mul_i32 s1, s29, s25
	s_ashr_i32 s15, s14, 31
	s_add_u32 s8, s8, s14
	s_addc_u32 s9, s9, s15
	v_mul_lo_u32 v2, v2, s2
	s_ashr_i32 s14, s1, 31
	s_add_u32 s15, s8, s1
	s_addc_u32 s14, s9, s14
	s_ashr_i32 s1, s25, 31
	s_ashr_i32 s25, s24, 31
	s_lshr_b64 s[8:9], s[0:1], 2
	s_lshr_b32 s0, s1, 2
	v_sub_nc_u32_e32 v4, v33, v2
	v_mad_u64_u32 v[2:3], null, s8, v48, 0
	s_lshr_b64 s[8:9], s[24:25], 2
	s_movk_i32 s1, 0x480
	v_mad_u64_u32 v[5:6], null, s8, v4, 0
	v_mad_u32_u24 v51, v1, s1, 0x2400
	s_mov_b32 s1, exec_lo
	v_mad_u64_u32 v[7:8], null, s0, v48, v[3:4]
	s_lshr_b32 s0, s25, 2
	v_mad_u64_u32 v[8:9], null, s0, v4, v[6:7]
	v_mov_b32_e32 v3, v7
	v_lshlrev_b32_e32 v7, 4, v0
	s_load_dword s0, s[4:5], 0x40
	v_lshlrev_b64 v[2:3], 2, v[2:3]
	v_mov_b32_e32 v6, v8
	v_add_co_u32 v2, vcc_lo, s15, v2
	v_lshlrev_b64 v[5:6], 2, v[5:6]
	v_add_co_ci_u32_e64 v3, null, s14, v3, vcc_lo
	v_add_co_u32 v2, vcc_lo, v2, v5
	v_add_co_ci_u32_e64 v3, null, v3, v6, vcc_lo
	v_add_nc_u32_e32 v5, v51, v50
	v_add_co_u32 v2, vcc_lo, v2, v7
	v_add_co_ci_u32_e64 v3, null, 0, v3, vcc_lo
	s_clause 0x3
	global_load_dwordx4 v[6:9], v[2:3], off
	global_load_dwordx4 v[10:13], v[2:3], off offset:512
	global_load_dwordx4 v[14:17], v[2:3], off offset:1024
	;; [unrolled: 1-line block ×3, first 2 shown]
	s_waitcnt vmcnt(3) lgkmcnt(0)
	v_fma_mixlo_f16 v6, s0, v6, 0
	v_fma_mixlo_f16 v7, s0, v7, 0
	;; [unrolled: 1-line block ×4, first 2 shown]
	s_waitcnt vmcnt(2)
	v_fma_mixlo_f16 v10, s0, v10, 0
	v_fma_mixlo_f16 v11, s0, v11, 0
	;; [unrolled: 1-line block ×4, first 2 shown]
	s_waitcnt vmcnt(1)
	v_fma_mixlo_f16 v14, s0, v14, 0
	v_fma_mixlo_f16 v15, s0, v15, 0
	s_waitcnt vmcnt(0)
	v_fma_mixlo_f16 v18, s0, v18, 0
	v_fma_mixlo_f16 v19, s0, v19, 0
	v_lshlrev_b32_e32 v7, 16, v7
	v_and_b32_e32 v6, 0xffff, v6
	v_lshlrev_b32_e32 v9, 16, v9
	v_and_b32_e32 v8, 0xffff, v8
	v_lshlrev_b32_e32 v11, 16, v11
	v_and_b32_e32 v10, 0xffff, v10
	v_fma_mixlo_f16 v16, s0, v16, 0
	v_fma_mixlo_f16 v17, s0, v17, 0
	;; [unrolled: 1-line block ×4, first 2 shown]
	v_lshlrev_b32_e32 v13, 16, v13
	v_and_b32_e32 v12, 0xffff, v12
	v_lshlrev_b32_e32 v15, 16, v15
	v_and_b32_e32 v14, 0xffff, v14
	;; [unrolled: 2-line block ×3, first 2 shown]
	v_or_b32_e32 v6, v7, v6
	v_or3_b32 v7, v9, v8, 0
	v_or_b32_e32 v8, v11, v10
	v_lshlrev_b32_e32 v17, 16, v17
	v_and_b32_e32 v16, 0xffff, v16
	v_lshlrev_b32_e32 v21, 16, v21
	v_and_b32_e32 v20, 0xffff, v20
	v_or3_b32 v9, v13, v12, 0
	v_or_b32_e32 v10, v15, v14
	v_or_b32_e32 v12, v19, v18
	v_or3_b32 v6, 0, 0, v6
	v_or3_b32 v8, 0, 0, v8
	v_or3_b32 v11, v17, v16, 0
	v_or3_b32 v13, v21, v20, 0
	v_or3_b32 v10, 0, 0, v10
	v_or3_b32 v12, 0, 0, v12
	ds_write2_b64 v5, v[6:7], v[8:9] offset1:32
	ds_write2_b64 v5, v[10:11], v[12:13] offset0:64 offset1:96
	v_cmpx_gt_u32_e32 16, v0
	s_cbranch_execz .LBB28_4
; %bb.3:
	v_add_co_u32 v2, vcc_lo, 0x800, v2
	v_add_co_ci_u32_e64 v3, null, 0, v3, vcc_lo
	global_load_dwordx4 v[6:9], v[2:3], off
	s_waitcnt vmcnt(0)
	v_fma_mixlo_f16 v2, s0, v7, 0
	v_fma_mixlo_f16 v3, s0, v6, 0
	;; [unrolled: 1-line block ×4, first 2 shown]
	v_lshlrev_b32_e32 v2, 16, v2
	v_and_b32_e32 v3, 0xffff, v3
	v_and_b32_e32 v6, 0xffff, v6
	v_lshlrev_b32_e32 v7, 16, v7
	v_or_b32_e32 v2, v2, v3
	v_or3_b32 v3, v7, v6, 0
	v_or3_b32 v2, 0, 0, v2
	ds_write_b64 v5, v[2:3] offset:1024
.LBB28_4:
	s_or_b32 exec_lo, exec_lo, s1
	s_cmp_eq_u64 s[18:19], 0
	s_waitcnt lgkmcnt(0)
	s_barrier
	buffer_gl0_inv
	s_cbranch_scc1 .LBB28_6
; %bb.5:
	s_load_dword s0, s[4:5], 0xd0
	s_mov_b32 s1, 0
	s_waitcnt lgkmcnt(0)
	s_mul_i32 s0, s0, s7
	s_add_i32 s0, s0, s6
	s_lshl_b64 s[0:1], s[0:1], 2
	s_add_u32 s0, s18, s0
	s_addc_u32 s1, s19, s1
	s_load_dword s30, s[0:1], 0x0
.LBB28_6:
	v_lshlrev_b32_e32 v49, 2, v0
	v_mbcnt_lo_u32_b32 v52, -1, 0
	s_lshl_b32 s6, s28, 6
	s_waitcnt lgkmcnt(0)
	s_cmp_lt_i32 s6, s30
	s_cbranch_scc1 .LBB28_9
; %bb.7:
	v_mbcnt_lo_u32_b32 v3, -1, 0
	v_mov_b32_e32 v2, 32
	v_xor_b32_e32 v69, 16, v3
	v_xor_b32_e32 v68, 8, v3
	;; [unrolled: 1-line block ×5, first 2 shown]
	s_cbranch_execz .LBB28_10
; %bb.8:
	v_mov_b32_e32 v21, 0
	v_mov_b32_e32 v1, 0
	;; [unrolled: 1-line block ×10, first 2 shown]
	s_branch .LBB28_22
.LBB28_9:
                                        ; implicit-def: $vgpr3
                                        ; implicit-def: $vgpr2
                                        ; implicit-def: $vgpr69
                                        ; implicit-def: $vgpr68
                                        ; implicit-def: $vgpr70
                                        ; implicit-def: $vgpr71
                                        ; implicit-def: $vgpr72
.LBB28_10:
	s_clause 0x1
	s_load_dwordx4 s[24:27], s[4:5], 0x98
	s_load_dwordx2 s[0:1], s[4:5], 0x8c
	s_sub_i32 s8, 0, s31
	s_abs_i32 s18, s29
	s_mul_i32 s8, s8, s38
	s_ashr_i32 s36, s37, 1
	s_mul_hi_u32 s8, s38, s8
	s_ashr_i32 s19, s29, 31
	s_add_i32 s38, s38, s8
	s_ashr_i32 s33, s33, 31
	s_mul_hi_u32 s37, s18, s38
	s_ashr_i32 s38, s7, 31
	s_load_dwordx2 s[14:15], s[4:5], 0xa8
	s_mul_i32 s39, s37, s31
	v_lshrrev_b32_e32 v2, 3, v0
	v_and_b32_e32 v15, 28, v49
	v_lshlrev_b32_e32 v57, 2, v49
	v_lshl_add_u32 v59, v1, 7, 0x3600
	v_mad_u64_u32 v[34:35], null, v4, s36, v[0:1]
	s_waitcnt lgkmcnt(0)
	s_mul_i32 s40, s24, s38
	s_ashr_i32 s9, s0, 2
	s_mul_hi_u32 s0, s24, s7
	s_mul_i32 s25, s25, s7
	s_add_i32 s0, s0, s40
	s_mul_i32 s24, s24, s7
	s_ashr_i32 s8, s26, 2
	s_add_i32 s0, s0, s25
	s_add_u32 s10, s10, s24
	s_addc_u32 s0, s11, s0
	s_sub_i32 s18, s18, s39
	s_xor_b32 s11, s19, s33
	s_add_i32 s19, s37, 1
	s_sub_i32 s24, s18, s31
	s_cmp_ge_u32 s18, s31
	v_lshl_add_u32 v3, v1, 2, v2
	s_cselect_b32 s19, s19, s37
	s_cselect_b32 s18, s24, s18
	s_add_i32 s24, s19, 1
	s_cmp_ge_u32 s18, s31
	s_mul_i32 s15, s15, s7
	s_cselect_b32 s18, s24, s19
	s_mul_hi_u32 s19, s14, s7
	s_xor_b32 s18, s18, s11
	s_mul_i32 s24, s14, s38
	s_sub_i32 s18, s18, s11
	v_mul_lo_u32 v2, s9, v3
	s_mul_i32 s1, s18, s1
	s_mul_i32 s14, s14, s7
	s_ashr_i32 s11, s1, 31
	s_add_u32 s10, s10, s1
	s_addc_u32 s11, s0, s11
	s_add_i32 s0, s19, s24
	s_mul_i32 s18, s18, s27
	s_add_i32 s0, s0, s15
	s_add_u32 s1, s12, s14
	s_addc_u32 s0, s13, s0
	s_ashr_i32 s13, s18, 31
	s_add_u32 s12, s1, s18
	s_addc_u32 s13, s0, s13
	s_lshl_b32 s0, s9, 4
	v_mul_lo_u32 v11, s8, v1
	v_add_nc_u32_e32 v5, s0, v2
	s_load_dword s14, s[4:5], 0x54
	v_lshlrev_b32_e32 v6, 2, v15
	v_lshl_add_u32 v60, v1, 10, v57
	v_mov_b32_e32 v17, 0
	v_add_nc_u32_e32 v7, s0, v5
	v_mul_u32_u24_e32 v58, 0x90, v0
	v_mad_u32_u24 v53, 0x90, v3, v6
	v_ashrrev_i32_e32 v3, 31, v2
	v_ashrrev_i32_e32 v6, 31, v5
	v_add_nc_u32_e32 v9, s0, v7
	s_and_b32 s0, s26, -4
	v_ashrrev_i32_e32 v8, 31, v7
	v_add_nc_u32_e32 v13, s0, v11
	v_ashrrev_i32_e32 v12, 31, v11
	v_ashrrev_i32_e32 v10, 31, v9
	v_lshlrev_b64 v[35:36], 2, v[2:3]
	v_lshlrev_b64 v[37:38], 2, v[5:6]
	v_ashrrev_i32_e32 v14, 31, v13
	v_lshlrev_b64 v[39:40], 2, v[7:8]
	v_lshlrev_b64 v[41:42], 2, v[9:10]
	;; [unrolled: 1-line block ×3, first 2 shown]
	v_add_nc_u32_e32 v54, 0x900, v53
	v_lshlrev_b64 v[45:46], 2, v[13:14]
	v_add_nc_u32_e32 v55, 0x1200, v53
	v_add_nc_u32_e32 v56, 0x1b00, v53
	v_lshl_add_u32 v61, v0, 1, v59
	v_add_nc_u32_e32 v62, 0x200, v60
	v_add_nc_u32_e32 v63, 0x1000, v60
	;; [unrolled: 1-line block ×3, first 2 shown]
	v_mov_b32_e32 v25, 0xfeffffff
	v_lshlrev_b32_e32 v65, 2, v15
	v_mov_b32_e32 v66, 0x10001
	v_mov_b32_e32 v18, 0
	;; [unrolled: 1-line block ×9, first 2 shown]
	s_add_u32 s0, s4, 0xd0
	s_addc_u32 s1, s5, 0
	s_mov_b32 s15, 0xbbbac73d
.LBB28_11:                              ; =>This Inner Loop Header: Depth=1
	s_mul_hi_i32 s19, s6, s9
	s_mul_i32 s18, s6, s9
	s_lshl_b64 s[18:19], s[18:19], 2
	s_add_u32 s18, s10, s18
	s_addc_u32 s19, s11, s19
	v_add_co_u32 v1, vcc_lo, s18, v35
	v_add_co_ci_u32_e64 v2, null, s19, v36, vcc_lo
	v_add_co_u32 v3, vcc_lo, s18, v37
	v_add_co_ci_u32_e64 v4, null, s19, v38, vcc_lo
	;; [unrolled: 2-line block ×8, first 2 shown]
	s_clause 0x3
	global_load_dwordx4 v[9:12], v[1:2], off
	global_load_dwordx4 v[13:16], v[3:4], off
	;; [unrolled: 1-line block ×4, first 2 shown]
	s_waitcnt vmcnt(3)
	ds_write_b128 v53, v[9:12]
	s_waitcnt vmcnt(2)
	ds_write_b128 v54, v[13:16]
	;; [unrolled: 2-line block ×4, first 2 shown]
	s_waitcnt lgkmcnt(0)
	s_barrier
	buffer_gl0_inv
	ds_read_b128 v[11:14], v58
	ds_read_b128 v[26:29], v51
	ds_read_b128 v[68:71], v58 offset:4608
	v_mov_b32_e32 v9, 0
	s_waitcnt lgkmcnt(1)
	;;#ASMSTART
	v_dot2_f32_f16 v9, v11, v26, v9
	;;#ASMEND
	;;#ASMSTART
	v_dot2_f32_f16 v9, v12, v27, v9
	;;#ASMEND
	v_mov_b32_e32 v10, 0
	;;#ASMSTART
	v_dot2_f32_f16 v9, v13, v28, v9
	;;#ASMEND
	;;#ASMSTART
	v_dot2_f32_f16 v9, v14, v29, v9
	;;#ASMEND
	s_waitcnt lgkmcnt(0)
	;;#ASMSTART
	v_dot2_f32_f16 v10, v68, v26, v10
	;;#ASMEND
	;;#ASMSTART
	v_dot2_f32_f16 v10, v69, v27, v10
	;;#ASMEND
	;;#ASMSTART
	v_dot2_f32_f16 v10, v70, v28, v10
	;;#ASMEND
	;;#ASMSTART
	v_dot2_f32_f16 v10, v71, v29, v10
	;;#ASMEND
	ds_read_b128 v[11:14], v58 offset:16
	ds_read_b128 v[26:29], v51 offset:16
	ds_read_b128 v[68:71], v58 offset:4624
	s_waitcnt lgkmcnt(1)
	;;#ASMSTART
	v_dot2_f32_f16 v9, v11, v26, v9
	;;#ASMEND
	;;#ASMSTART
	v_dot2_f32_f16 v9, v12, v27, v9
	;;#ASMEND
	;;#ASMSTART
	v_dot2_f32_f16 v9, v13, v28, v9
	;;#ASMEND
	;;#ASMSTART
	v_dot2_f32_f16 v9, v14, v29, v9
	;;#ASMEND
	s_waitcnt lgkmcnt(0)
	;;#ASMSTART
	v_dot2_f32_f16 v10, v68, v26, v10
	;;#ASMEND
	;;#ASMSTART
	v_dot2_f32_f16 v10, v69, v27, v10
	;;#ASMEND
	;;#ASMSTART
	v_dot2_f32_f16 v10, v70, v28, v10
	;;#ASMEND
	;;#ASMSTART
	v_dot2_f32_f16 v10, v71, v29, v10
	;;#ASMEND
	ds_read_b128 v[11:14], v58 offset:32
	ds_read_b128 v[26:29], v51 offset:32
	ds_read_b128 v[68:71], v58 offset:4640
	s_waitcnt lgkmcnt(1)
	;;#ASMSTART
	v_dot2_f32_f16 v9, v11, v26, v9
	;;#ASMEND
	;;#ASMSTART
	v_dot2_f32_f16 v9, v12, v27, v9
	;;#ASMEND
	;; [unrolled: 29-line block ×7, first 2 shown]
	;;#ASMSTART
	v_dot2_f32_f16 v9, v13, v28, v9
	;;#ASMEND
	;;#ASMSTART
	v_dot2_f32_f16 v9, v14, v29, v9
	;;#ASMEND
	s_waitcnt lgkmcnt(0)
	;;#ASMSTART
	v_dot2_f32_f16 v10, v68, v26, v10
	;;#ASMEND
	;;#ASMSTART
	v_dot2_f32_f16 v10, v69, v27, v10
	;;#ASMEND
	;;#ASMSTART
	v_dot2_f32_f16 v10, v70, v28, v10
	;;#ASMEND
	;;#ASMSTART
	v_dot2_f32_f16 v10, v71, v29, v10
	;;#ASMEND
	s_barrier
	buffer_gl0_inv
	s_clause 0x3
	global_load_dwordx4 v[11:14], v[1:2], off offset:128
	global_load_dwordx4 v[26:29], v[3:4], off offset:128
	;; [unrolled: 1-line block ×4, first 2 shown]
	s_waitcnt vmcnt(3)
	ds_write_b128 v53, v[11:14]
	s_waitcnt vmcnt(2)
	ds_write_b128 v54, v[26:29]
	;; [unrolled: 2-line block ×4, first 2 shown]
	s_waitcnt lgkmcnt(0)
	s_barrier
	buffer_gl0_inv
	ds_read_b128 v[11:14], v58
	ds_read_b128 v[26:29], v51 offset:128
	ds_read_b128 v[68:71], v58 offset:4608
	s_waitcnt lgkmcnt(1)
	;;#ASMSTART
	v_dot2_f32_f16 v9, v11, v26, v9
	;;#ASMEND
	;;#ASMSTART
	v_dot2_f32_f16 v9, v12, v27, v9
	;;#ASMEND
	;;#ASMSTART
	v_dot2_f32_f16 v9, v13, v28, v9
	;;#ASMEND
	;;#ASMSTART
	v_dot2_f32_f16 v9, v14, v29, v9
	;;#ASMEND
	s_waitcnt lgkmcnt(0)
	;;#ASMSTART
	v_dot2_f32_f16 v10, v68, v26, v10
	;;#ASMEND
	;;#ASMSTART
	v_dot2_f32_f16 v10, v69, v27, v10
	;;#ASMEND
	;;#ASMSTART
	v_dot2_f32_f16 v10, v70, v28, v10
	;;#ASMEND
	;;#ASMSTART
	v_dot2_f32_f16 v10, v71, v29, v10
	;;#ASMEND
	ds_read_b128 v[11:14], v58 offset:16
	ds_read_b128 v[26:29], v51 offset:144
	ds_read_b128 v[68:71], v58 offset:4624
	s_waitcnt lgkmcnt(1)
	;;#ASMSTART
	v_dot2_f32_f16 v9, v11, v26, v9
	;;#ASMEND
	;;#ASMSTART
	v_dot2_f32_f16 v9, v12, v27, v9
	;;#ASMEND
	;;#ASMSTART
	v_dot2_f32_f16 v9, v13, v28, v9
	;;#ASMEND
	;;#ASMSTART
	v_dot2_f32_f16 v9, v14, v29, v9
	;;#ASMEND
	s_waitcnt lgkmcnt(0)
	;;#ASMSTART
	v_dot2_f32_f16 v10, v68, v26, v10
	;;#ASMEND
	;;#ASMSTART
	v_dot2_f32_f16 v10, v69, v27, v10
	;;#ASMEND
	;;#ASMSTART
	v_dot2_f32_f16 v10, v70, v28, v10
	;;#ASMEND
	;;#ASMSTART
	v_dot2_f32_f16 v10, v71, v29, v10
	;;#ASMEND
	ds_read_b128 v[11:14], v58 offset:32
	;; [unrolled: 29-line block ×7, first 2 shown]
	ds_read_b128 v[26:29], v51 offset:240
	ds_read_b128 v[68:71], v58 offset:4720
	s_waitcnt lgkmcnt(1)
	;;#ASMSTART
	v_dot2_f32_f16 v9, v11, v26, v9
	;;#ASMEND
	;;#ASMSTART
	v_dot2_f32_f16 v9, v12, v27, v9
	;;#ASMEND
	;; [unrolled: 3-line block ×4, first 2 shown]
	s_waitcnt lgkmcnt(0)
	;;#ASMSTART
	v_dot2_f32_f16 v10, v68, v26, v10
	;;#ASMEND
	;;#ASMSTART
	v_dot2_f32_f16 v10, v69, v27, v10
	;;#ASMEND
	;; [unrolled: 3-line block ×4, first 2 shown]
	s_barrier
	buffer_gl0_inv
	s_clause 0x3
	global_load_dwordx4 v[11:14], v[1:2], off offset:256
	global_load_dwordx4 v[26:29], v[3:4], off offset:256
	;; [unrolled: 1-line block ×4, first 2 shown]
	s_waitcnt vmcnt(3)
	ds_write_b128 v53, v[11:14]
	s_waitcnt vmcnt(2)
	ds_write_b128 v54, v[26:29]
	;; [unrolled: 2-line block ×4, first 2 shown]
	s_waitcnt lgkmcnt(0)
	s_barrier
	buffer_gl0_inv
	ds_read_b128 v[11:14], v58
	ds_read_b128 v[26:29], v51 offset:256
	ds_read_b128 v[68:71], v58 offset:4608
	s_waitcnt lgkmcnt(1)
	;;#ASMSTART
	v_dot2_f32_f16 v9, v11, v26, v9
	;;#ASMEND
	;;#ASMSTART
	v_dot2_f32_f16 v9, v12, v27, v9
	;;#ASMEND
	;;#ASMSTART
	v_dot2_f32_f16 v9, v13, v28, v9
	;;#ASMEND
	;;#ASMSTART
	v_dot2_f32_f16 v9, v14, v29, v9
	;;#ASMEND
	s_waitcnt lgkmcnt(0)
	;;#ASMSTART
	v_dot2_f32_f16 v10, v68, v26, v10
	;;#ASMEND
	;;#ASMSTART
	v_dot2_f32_f16 v10, v69, v27, v10
	;;#ASMEND
	;;#ASMSTART
	v_dot2_f32_f16 v10, v70, v28, v10
	;;#ASMEND
	;;#ASMSTART
	v_dot2_f32_f16 v10, v71, v29, v10
	;;#ASMEND
	ds_read_b128 v[11:14], v58 offset:16
	ds_read_b128 v[26:29], v51 offset:272
	ds_read_b128 v[68:71], v58 offset:4624
	s_waitcnt lgkmcnt(1)
	;;#ASMSTART
	v_dot2_f32_f16 v9, v11, v26, v9
	;;#ASMEND
	;;#ASMSTART
	v_dot2_f32_f16 v9, v12, v27, v9
	;;#ASMEND
	;;#ASMSTART
	v_dot2_f32_f16 v9, v13, v28, v9
	;;#ASMEND
	;;#ASMSTART
	v_dot2_f32_f16 v9, v14, v29, v9
	;;#ASMEND
	s_waitcnt lgkmcnt(0)
	;;#ASMSTART
	v_dot2_f32_f16 v10, v68, v26, v10
	;;#ASMEND
	;;#ASMSTART
	v_dot2_f32_f16 v10, v69, v27, v10
	;;#ASMEND
	;;#ASMSTART
	v_dot2_f32_f16 v10, v70, v28, v10
	;;#ASMEND
	;;#ASMSTART
	v_dot2_f32_f16 v10, v71, v29, v10
	;;#ASMEND
	ds_read_b128 v[11:14], v58 offset:32
	;; [unrolled: 29-line block ×7, first 2 shown]
	ds_read_b128 v[26:29], v51 offset:368
	ds_read_b128 v[68:71], v58 offset:4720
	s_waitcnt lgkmcnt(1)
	;;#ASMSTART
	v_dot2_f32_f16 v9, v11, v26, v9
	;;#ASMEND
	;;#ASMSTART
	v_dot2_f32_f16 v9, v12, v27, v9
	;;#ASMEND
	;; [unrolled: 3-line block ×4, first 2 shown]
	s_waitcnt lgkmcnt(0)
	;;#ASMSTART
	v_dot2_f32_f16 v10, v68, v26, v10
	;;#ASMEND
	;;#ASMSTART
	v_dot2_f32_f16 v10, v69, v27, v10
	;;#ASMEND
	;; [unrolled: 3-line block ×4, first 2 shown]
	s_barrier
	buffer_gl0_inv
	s_clause 0x3
	global_load_dwordx4 v[11:14], v[1:2], off offset:384
	global_load_dwordx4 v[26:29], v[3:4], off offset:384
	;; [unrolled: 1-line block ×4, first 2 shown]
	s_waitcnt vmcnt(3)
	ds_write_b128 v53, v[11:14]
	s_waitcnt vmcnt(2)
	ds_write_b128 v54, v[26:29]
	;; [unrolled: 2-line block ×4, first 2 shown]
	s_waitcnt lgkmcnt(0)
	s_barrier
	buffer_gl0_inv
	ds_read_b128 v[11:14], v58
	ds_read_b128 v[26:29], v51 offset:384
	ds_read_b128 v[68:71], v58 offset:4608
	s_waitcnt lgkmcnt(1)
	;;#ASMSTART
	v_dot2_f32_f16 v9, v11, v26, v9
	;;#ASMEND
	;;#ASMSTART
	v_dot2_f32_f16 v9, v12, v27, v9
	;;#ASMEND
	;;#ASMSTART
	v_dot2_f32_f16 v9, v13, v28, v9
	;;#ASMEND
	;;#ASMSTART
	v_dot2_f32_f16 v9, v14, v29, v9
	;;#ASMEND
	s_waitcnt lgkmcnt(0)
	;;#ASMSTART
	v_dot2_f32_f16 v10, v68, v26, v10
	;;#ASMEND
	;;#ASMSTART
	v_dot2_f32_f16 v10, v69, v27, v10
	;;#ASMEND
	;;#ASMSTART
	v_dot2_f32_f16 v10, v70, v28, v10
	;;#ASMEND
	;;#ASMSTART
	v_dot2_f32_f16 v10, v71, v29, v10
	;;#ASMEND
	ds_read_b128 v[11:14], v58 offset:16
	ds_read_b128 v[26:29], v51 offset:400
	ds_read_b128 v[68:71], v58 offset:4624
	s_waitcnt lgkmcnt(1)
	;;#ASMSTART
	v_dot2_f32_f16 v9, v11, v26, v9
	;;#ASMEND
	;;#ASMSTART
	v_dot2_f32_f16 v9, v12, v27, v9
	;;#ASMEND
	;;#ASMSTART
	v_dot2_f32_f16 v9, v13, v28, v9
	;;#ASMEND
	;;#ASMSTART
	v_dot2_f32_f16 v9, v14, v29, v9
	;;#ASMEND
	s_waitcnt lgkmcnt(0)
	;;#ASMSTART
	v_dot2_f32_f16 v10, v68, v26, v10
	;;#ASMEND
	;;#ASMSTART
	v_dot2_f32_f16 v10, v69, v27, v10
	;;#ASMEND
	;;#ASMSTART
	v_dot2_f32_f16 v10, v70, v28, v10
	;;#ASMEND
	;;#ASMSTART
	v_dot2_f32_f16 v10, v71, v29, v10
	;;#ASMEND
	ds_read_b128 v[11:14], v58 offset:32
	;; [unrolled: 29-line block ×7, first 2 shown]
	ds_read_b128 v[26:29], v51 offset:496
	ds_read_b128 v[68:71], v58 offset:4720
	s_waitcnt lgkmcnt(1)
	;;#ASMSTART
	v_dot2_f32_f16 v9, v11, v26, v9
	;;#ASMEND
	;;#ASMSTART
	v_dot2_f32_f16 v9, v12, v27, v9
	;;#ASMEND
	;; [unrolled: 3-line block ×4, first 2 shown]
	s_waitcnt lgkmcnt(0)
	;;#ASMSTART
	v_dot2_f32_f16 v10, v68, v26, v10
	;;#ASMEND
	;;#ASMSTART
	v_dot2_f32_f16 v10, v69, v27, v10
	;;#ASMEND
	;;#ASMSTART
	v_dot2_f32_f16 v10, v70, v28, v10
	;;#ASMEND
	;;#ASMSTART
	v_dot2_f32_f16 v10, v71, v29, v10
	;;#ASMEND
	s_barrier
	buffer_gl0_inv
	s_clause 0x3
	global_load_dwordx4 v[11:14], v[1:2], off offset:512
	global_load_dwordx4 v[26:29], v[3:4], off offset:512
	;; [unrolled: 1-line block ×4, first 2 shown]
	s_waitcnt vmcnt(3)
	ds_write_b128 v53, v[11:14]
	s_waitcnt vmcnt(2)
	ds_write_b128 v54, v[26:29]
	;; [unrolled: 2-line block ×4, first 2 shown]
	s_waitcnt lgkmcnt(0)
	s_barrier
	buffer_gl0_inv
	ds_read_b128 v[11:14], v58
	ds_read_b128 v[26:29], v51 offset:512
	ds_read_b128 v[68:71], v58 offset:4608
	s_waitcnt lgkmcnt(1)
	;;#ASMSTART
	v_dot2_f32_f16 v9, v11, v26, v9
	;;#ASMEND
	;;#ASMSTART
	v_dot2_f32_f16 v9, v12, v27, v9
	;;#ASMEND
	;;#ASMSTART
	v_dot2_f32_f16 v9, v13, v28, v9
	;;#ASMEND
	;;#ASMSTART
	v_dot2_f32_f16 v9, v14, v29, v9
	;;#ASMEND
	s_waitcnt lgkmcnt(0)
	;;#ASMSTART
	v_dot2_f32_f16 v10, v68, v26, v10
	;;#ASMEND
	;;#ASMSTART
	v_dot2_f32_f16 v10, v69, v27, v10
	;;#ASMEND
	;;#ASMSTART
	v_dot2_f32_f16 v10, v70, v28, v10
	;;#ASMEND
	;;#ASMSTART
	v_dot2_f32_f16 v10, v71, v29, v10
	;;#ASMEND
	ds_read_b128 v[11:14], v58 offset:16
	ds_read_b128 v[26:29], v51 offset:528
	ds_read_b128 v[68:71], v58 offset:4624
	s_waitcnt lgkmcnt(1)
	;;#ASMSTART
	v_dot2_f32_f16 v9, v11, v26, v9
	;;#ASMEND
	;;#ASMSTART
	v_dot2_f32_f16 v9, v12, v27, v9
	;;#ASMEND
	;;#ASMSTART
	v_dot2_f32_f16 v9, v13, v28, v9
	;;#ASMEND
	;;#ASMSTART
	v_dot2_f32_f16 v9, v14, v29, v9
	;;#ASMEND
	s_waitcnt lgkmcnt(0)
	;;#ASMSTART
	v_dot2_f32_f16 v10, v68, v26, v10
	;;#ASMEND
	;;#ASMSTART
	v_dot2_f32_f16 v10, v69, v27, v10
	;;#ASMEND
	;;#ASMSTART
	v_dot2_f32_f16 v10, v70, v28, v10
	;;#ASMEND
	;;#ASMSTART
	v_dot2_f32_f16 v10, v71, v29, v10
	;;#ASMEND
	ds_read_b128 v[11:14], v58 offset:32
	;; [unrolled: 29-line block ×7, first 2 shown]
	ds_read_b128 v[26:29], v51 offset:624
	ds_read_b128 v[68:71], v58 offset:4720
	s_waitcnt lgkmcnt(1)
	;;#ASMSTART
	v_dot2_f32_f16 v9, v11, v26, v9
	;;#ASMEND
	;;#ASMSTART
	v_dot2_f32_f16 v9, v12, v27, v9
	;;#ASMEND
	;; [unrolled: 3-line block ×4, first 2 shown]
	s_waitcnt lgkmcnt(0)
	;;#ASMSTART
	v_dot2_f32_f16 v10, v68, v26, v10
	;;#ASMEND
	;;#ASMSTART
	v_dot2_f32_f16 v10, v69, v27, v10
	;;#ASMEND
	;; [unrolled: 3-line block ×4, first 2 shown]
	s_barrier
	buffer_gl0_inv
	s_clause 0x3
	global_load_dwordx4 v[11:14], v[1:2], off offset:640
	global_load_dwordx4 v[26:29], v[3:4], off offset:640
	;; [unrolled: 1-line block ×4, first 2 shown]
	s_waitcnt vmcnt(3)
	ds_write_b128 v53, v[11:14]
	s_waitcnt vmcnt(2)
	ds_write_b128 v54, v[26:29]
	;; [unrolled: 2-line block ×4, first 2 shown]
	s_waitcnt lgkmcnt(0)
	s_barrier
	buffer_gl0_inv
	ds_read_b128 v[11:14], v58
	ds_read_b128 v[26:29], v51 offset:640
	ds_read_b128 v[68:71], v58 offset:4608
	s_waitcnt lgkmcnt(1)
	;;#ASMSTART
	v_dot2_f32_f16 v9, v11, v26, v9
	;;#ASMEND
	;;#ASMSTART
	v_dot2_f32_f16 v9, v12, v27, v9
	;;#ASMEND
	;;#ASMSTART
	v_dot2_f32_f16 v9, v13, v28, v9
	;;#ASMEND
	;;#ASMSTART
	v_dot2_f32_f16 v9, v14, v29, v9
	;;#ASMEND
	s_waitcnt lgkmcnt(0)
	;;#ASMSTART
	v_dot2_f32_f16 v10, v68, v26, v10
	;;#ASMEND
	;;#ASMSTART
	v_dot2_f32_f16 v10, v69, v27, v10
	;;#ASMEND
	;;#ASMSTART
	v_dot2_f32_f16 v10, v70, v28, v10
	;;#ASMEND
	;;#ASMSTART
	v_dot2_f32_f16 v10, v71, v29, v10
	;;#ASMEND
	ds_read_b128 v[11:14], v58 offset:16
	ds_read_b128 v[26:29], v51 offset:656
	ds_read_b128 v[68:71], v58 offset:4624
	s_waitcnt lgkmcnt(1)
	;;#ASMSTART
	v_dot2_f32_f16 v9, v11, v26, v9
	;;#ASMEND
	;;#ASMSTART
	v_dot2_f32_f16 v9, v12, v27, v9
	;;#ASMEND
	;;#ASMSTART
	v_dot2_f32_f16 v9, v13, v28, v9
	;;#ASMEND
	;;#ASMSTART
	v_dot2_f32_f16 v9, v14, v29, v9
	;;#ASMEND
	s_waitcnt lgkmcnt(0)
	;;#ASMSTART
	v_dot2_f32_f16 v10, v68, v26, v10
	;;#ASMEND
	;;#ASMSTART
	v_dot2_f32_f16 v10, v69, v27, v10
	;;#ASMEND
	;;#ASMSTART
	v_dot2_f32_f16 v10, v70, v28, v10
	;;#ASMEND
	;;#ASMSTART
	v_dot2_f32_f16 v10, v71, v29, v10
	;;#ASMEND
	ds_read_b128 v[11:14], v58 offset:32
	;; [unrolled: 29-line block ×7, first 2 shown]
	ds_read_b128 v[26:29], v51 offset:752
	ds_read_b128 v[68:71], v58 offset:4720
	s_waitcnt lgkmcnt(1)
	;;#ASMSTART
	v_dot2_f32_f16 v9, v11, v26, v9
	;;#ASMEND
	;;#ASMSTART
	v_dot2_f32_f16 v9, v12, v27, v9
	;;#ASMEND
	;;#ASMSTART
	v_dot2_f32_f16 v9, v13, v28, v9
	;;#ASMEND
	;;#ASMSTART
	v_dot2_f32_f16 v9, v14, v29, v9
	;;#ASMEND
	s_waitcnt lgkmcnt(0)
	;;#ASMSTART
	v_dot2_f32_f16 v10, v68, v26, v10
	;;#ASMEND
	;;#ASMSTART
	v_dot2_f32_f16 v10, v69, v27, v10
	;;#ASMEND
	;; [unrolled: 3-line block ×4, first 2 shown]
	s_barrier
	buffer_gl0_inv
	s_clause 0x3
	global_load_dwordx4 v[11:14], v[1:2], off offset:768
	global_load_dwordx4 v[26:29], v[3:4], off offset:768
	;; [unrolled: 1-line block ×4, first 2 shown]
	s_waitcnt vmcnt(3)
	ds_write_b128 v53, v[11:14]
	s_waitcnt vmcnt(2)
	ds_write_b128 v54, v[26:29]
	;; [unrolled: 2-line block ×4, first 2 shown]
	s_waitcnt lgkmcnt(0)
	s_barrier
	buffer_gl0_inv
	ds_read_b128 v[11:14], v58
	ds_read_b128 v[26:29], v51 offset:768
	ds_read_b128 v[68:71], v58 offset:4608
	s_waitcnt lgkmcnt(1)
	;;#ASMSTART
	v_dot2_f32_f16 v9, v11, v26, v9
	;;#ASMEND
	;;#ASMSTART
	v_dot2_f32_f16 v9, v12, v27, v9
	;;#ASMEND
	;;#ASMSTART
	v_dot2_f32_f16 v9, v13, v28, v9
	;;#ASMEND
	;;#ASMSTART
	v_dot2_f32_f16 v9, v14, v29, v9
	;;#ASMEND
	s_waitcnt lgkmcnt(0)
	;;#ASMSTART
	v_dot2_f32_f16 v10, v68, v26, v10
	;;#ASMEND
	;;#ASMSTART
	v_dot2_f32_f16 v10, v69, v27, v10
	;;#ASMEND
	;;#ASMSTART
	v_dot2_f32_f16 v10, v70, v28, v10
	;;#ASMEND
	;;#ASMSTART
	v_dot2_f32_f16 v10, v71, v29, v10
	;;#ASMEND
	ds_read_b128 v[11:14], v58 offset:16
	ds_read_b128 v[26:29], v51 offset:784
	ds_read_b128 v[68:71], v58 offset:4624
	s_waitcnt lgkmcnt(1)
	;;#ASMSTART
	v_dot2_f32_f16 v9, v11, v26, v9
	;;#ASMEND
	;;#ASMSTART
	v_dot2_f32_f16 v9, v12, v27, v9
	;;#ASMEND
	;;#ASMSTART
	v_dot2_f32_f16 v9, v13, v28, v9
	;;#ASMEND
	;;#ASMSTART
	v_dot2_f32_f16 v9, v14, v29, v9
	;;#ASMEND
	s_waitcnt lgkmcnt(0)
	;;#ASMSTART
	v_dot2_f32_f16 v10, v68, v26, v10
	;;#ASMEND
	;;#ASMSTART
	v_dot2_f32_f16 v10, v69, v27, v10
	;;#ASMEND
	;;#ASMSTART
	v_dot2_f32_f16 v10, v70, v28, v10
	;;#ASMEND
	;;#ASMSTART
	v_dot2_f32_f16 v10, v71, v29, v10
	;;#ASMEND
	ds_read_b128 v[11:14], v58 offset:32
	;; [unrolled: 29-line block ×7, first 2 shown]
	ds_read_b128 v[26:29], v51 offset:880
	ds_read_b128 v[68:71], v58 offset:4720
	s_waitcnt lgkmcnt(1)
	;;#ASMSTART
	v_dot2_f32_f16 v9, v11, v26, v9
	;;#ASMEND
	;;#ASMSTART
	v_dot2_f32_f16 v9, v12, v27, v9
	;;#ASMEND
	;; [unrolled: 3-line block ×4, first 2 shown]
	s_waitcnt lgkmcnt(0)
	;;#ASMSTART
	v_dot2_f32_f16 v10, v68, v26, v10
	;;#ASMEND
	;;#ASMSTART
	v_dot2_f32_f16 v10, v69, v27, v10
	;;#ASMEND
	;; [unrolled: 3-line block ×4, first 2 shown]
	s_barrier
	buffer_gl0_inv
	s_clause 0x3
	global_load_dwordx4 v[11:14], v[1:2], off offset:896
	global_load_dwordx4 v[26:29], v[3:4], off offset:896
	global_load_dwordx4 v[68:71], v[5:6], off offset:896
	global_load_dwordx4 v[72:75], v[7:8], off offset:896
	s_waitcnt vmcnt(3)
	ds_write_b128 v53, v[11:14]
	s_waitcnt vmcnt(2)
	ds_write_b128 v54, v[26:29]
	;; [unrolled: 2-line block ×4, first 2 shown]
	s_waitcnt lgkmcnt(0)
	s_barrier
	buffer_gl0_inv
	ds_read_b128 v[11:14], v58
	ds_read_b128 v[26:29], v51 offset:896
	ds_read_b128 v[68:71], v58 offset:4608
	s_waitcnt lgkmcnt(1)
	;;#ASMSTART
	v_dot2_f32_f16 v9, v11, v26, v9
	;;#ASMEND
	;;#ASMSTART
	v_dot2_f32_f16 v9, v12, v27, v9
	;;#ASMEND
	;;#ASMSTART
	v_dot2_f32_f16 v9, v13, v28, v9
	;;#ASMEND
	;;#ASMSTART
	v_dot2_f32_f16 v9, v14, v29, v9
	;;#ASMEND
	s_waitcnt lgkmcnt(0)
	;;#ASMSTART
	v_dot2_f32_f16 v10, v68, v26, v10
	;;#ASMEND
	;;#ASMSTART
	v_dot2_f32_f16 v10, v69, v27, v10
	;;#ASMEND
	;;#ASMSTART
	v_dot2_f32_f16 v10, v70, v28, v10
	;;#ASMEND
	;;#ASMSTART
	v_dot2_f32_f16 v10, v71, v29, v10
	;;#ASMEND
	ds_read_b128 v[11:14], v58 offset:16
	ds_read_b128 v[26:29], v51 offset:912
	ds_read_b128 v[68:71], v58 offset:4624
	s_waitcnt lgkmcnt(1)
	;;#ASMSTART
	v_dot2_f32_f16 v9, v11, v26, v9
	;;#ASMEND
	;;#ASMSTART
	v_dot2_f32_f16 v9, v12, v27, v9
	;;#ASMEND
	;;#ASMSTART
	v_dot2_f32_f16 v9, v13, v28, v9
	;;#ASMEND
	;;#ASMSTART
	v_dot2_f32_f16 v9, v14, v29, v9
	;;#ASMEND
	s_waitcnt lgkmcnt(0)
	;;#ASMSTART
	v_dot2_f32_f16 v10, v68, v26, v10
	;;#ASMEND
	;;#ASMSTART
	v_dot2_f32_f16 v10, v69, v27, v10
	;;#ASMEND
	;;#ASMSTART
	v_dot2_f32_f16 v10, v70, v28, v10
	;;#ASMEND
	;;#ASMSTART
	v_dot2_f32_f16 v10, v71, v29, v10
	;;#ASMEND
	ds_read_b128 v[11:14], v58 offset:32
	;; [unrolled: 29-line block ×7, first 2 shown]
	ds_read_b128 v[26:29], v51 offset:1008
	ds_read_b128 v[68:71], v58 offset:4720
	s_waitcnt lgkmcnt(1)
	;;#ASMSTART
	v_dot2_f32_f16 v9, v11, v26, v9
	;;#ASMEND
	;;#ASMSTART
	v_dot2_f32_f16 v9, v12, v27, v9
	;;#ASMEND
	;; [unrolled: 3-line block ×4, first 2 shown]
	s_waitcnt lgkmcnt(0)
	;;#ASMSTART
	v_dot2_f32_f16 v10, v68, v26, v10
	;;#ASMEND
	;;#ASMSTART
	v_dot2_f32_f16 v10, v69, v27, v10
	;;#ASMEND
	;; [unrolled: 3-line block ×4, first 2 shown]
	s_barrier
	buffer_gl0_inv
	s_clause 0x3
	global_load_dwordx4 v[11:14], v[1:2], off offset:1024
	global_load_dwordx4 v[1:4], v[3:4], off offset:1024
	;; [unrolled: 1-line block ×4, first 2 shown]
	s_waitcnt vmcnt(3)
	ds_write_b128 v53, v[11:14]
	s_waitcnt vmcnt(2)
	ds_write_b128 v54, v[1:4]
	s_waitcnt vmcnt(1)
	ds_write_b128 v55, v[26:29]
	s_waitcnt vmcnt(0)
	ds_write_b128 v56, v[5:8]
	s_waitcnt lgkmcnt(0)
	s_barrier
	buffer_gl0_inv
	ds_read_b128 v[1:4], v58
	ds_read_b128 v[5:8], v51 offset:1024
	ds_read_b128 v[11:14], v58 offset:4608
	s_waitcnt lgkmcnt(1)
	;;#ASMSTART
	v_dot2_f32_f16 v9, v1, v5, v9
	;;#ASMEND
	;;#ASMSTART
	v_dot2_f32_f16 v9, v2, v6, v9
	;;#ASMEND
	;;#ASMSTART
	v_dot2_f32_f16 v9, v3, v7, v9
	;;#ASMEND
	;;#ASMSTART
	v_dot2_f32_f16 v9, v4, v8, v9
	;;#ASMEND
	s_waitcnt lgkmcnt(0)
	;;#ASMSTART
	v_dot2_f32_f16 v10, v11, v5, v10
	;;#ASMEND
	;;#ASMSTART
	v_dot2_f32_f16 v10, v12, v6, v10
	;;#ASMEND
	;;#ASMSTART
	v_dot2_f32_f16 v10, v13, v7, v10
	;;#ASMEND
	;;#ASMSTART
	v_dot2_f32_f16 v10, v14, v8, v10
	;;#ASMEND
	ds_read_b128 v[1:4], v58 offset:16
	ds_read_b128 v[5:8], v51 offset:1040
	ds_read_b128 v[11:14], v58 offset:4624
	s_waitcnt lgkmcnt(1)
	;;#ASMSTART
	v_dot2_f32_f16 v9, v1, v5, v9
	;;#ASMEND
	;;#ASMSTART
	v_dot2_f32_f16 v9, v2, v6, v9
	;;#ASMEND
	;;#ASMSTART
	v_dot2_f32_f16 v9, v3, v7, v9
	;;#ASMEND
	;;#ASMSTART
	v_dot2_f32_f16 v9, v4, v8, v9
	;;#ASMEND
	s_waitcnt lgkmcnt(0)
	;;#ASMSTART
	v_dot2_f32_f16 v10, v11, v5, v10
	;;#ASMEND
	;;#ASMSTART
	v_dot2_f32_f16 v10, v12, v6, v10
	;;#ASMEND
	;;#ASMSTART
	v_dot2_f32_f16 v10, v13, v7, v10
	;;#ASMEND
	;;#ASMSTART
	v_dot2_f32_f16 v10, v14, v8, v10
	;;#ASMEND
	ds_read_b128 v[1:4], v58 offset:32
	;; [unrolled: 29-line block ×7, first 2 shown]
	ds_read_b128 v[5:8], v51 offset:1136
	ds_read_b128 v[11:14], v58 offset:4720
	s_waitcnt lgkmcnt(1)
	;;#ASMSTART
	v_dot2_f32_f16 v9, v1, v5, v9
	;;#ASMEND
	;;#ASMSTART
	v_dot2_f32_f16 v9, v2, v6, v9
	;;#ASMEND
	;; [unrolled: 3-line block ×4, first 2 shown]
	v_cmp_ngt_f32_e64 s18, 0x3f200000, |v9|
	s_waitcnt lgkmcnt(0)
	;;#ASMSTART
	v_dot2_f32_f16 v10, v11, v5, v10
	;;#ASMEND
	;;#ASMSTART
	v_dot2_f32_f16 v10, v12, v6, v10
	;;#ASMEND
	;; [unrolled: 3-line block ×4, first 2 shown]
                                        ; implicit-def: $vgpr3
	s_and_saveexec_b32 s19, s18
	s_xor_b32 s18, exec_lo, s19
	s_cbranch_execz .LBB28_13
; %bb.12:                               ;   in Loop: Header=BB28_11 Depth=1
	v_add_f32_e64 v1, |v9|, |v9|
	v_mul_f32_e32 v2, 0x3fb8aa3b, v1
	v_cmp_ngt_f32_e32 vcc_lo, 0xc2ce8ed0, v1
	v_rndne_f32_e32 v3, v2
	v_fma_f32 v4, 0x3fb8aa3b, v1, -v2
	v_sub_f32_e32 v2, v2, v3
	v_fmac_f32_e32 v4, 0x32a5705f, v1
	v_cvt_i32_f32_e32 v3, v3
	v_add_f32_e32 v2, v2, v4
	v_exp_f32_e32 v2, v2
	v_ldexp_f32 v2, v2, v3
	v_cndmask_b32_e32 v2, 0, v2, vcc_lo
	v_cmp_nlt_f32_e32 vcc_lo, 0x42b17218, v1
	v_cndmask_b32_e32 v1, 0x7f800000, v2, vcc_lo
	v_add_f32_e32 v1, 1.0, v1
	v_rcp_f32_e32 v1, v1
	v_fma_f32 v3, v1, -2.0, 1.0
.LBB28_13:                              ;   in Loop: Header=BB28_11 Depth=1
	s_andn2_saveexec_b32 s18, s18
	s_cbranch_execz .LBB28_15
; %bb.14:                               ;   in Loop: Header=BB28_11 Depth=1
	v_mul_f32_e32 v1, v9, v9
	v_fmaak_f32 v2, s15, v1, 0x3ca908c9
	v_fmaak_f32 v2, v1, v2, 0xbd5c1c4e
	;; [unrolled: 1-line block ×4, first 2 shown]
	v_mul_f32_e64 v2, |v9|, v2
	v_fma_f32 v3, v1, v2, |v9|
.LBB28_15:                              ;   in Loop: Header=BB28_11 Depth=1
	s_or_b32 exec_lo, exec_lo, s18
	v_add_nc_u32_e32 v1, s6, v34
	v_cmp_ngt_f32_e64 s18, 0x3f200000, |v10|
                                        ; implicit-def: $vgpr5
	v_ashrrev_i32_e32 v2, 31, v1
	v_lshlrev_b64 v[1:2], 1, v[1:2]
	v_add_co_u32 v1, vcc_lo, s34, v1
	v_add_co_ci_u32_e64 v2, null, s35, v2, vcc_lo
	global_load_ushort v4, v[1:2], off
	s_and_saveexec_b32 s19, s18
	s_xor_b32 s18, exec_lo, s19
	s_cbranch_execz .LBB28_17
; %bb.16:                               ;   in Loop: Header=BB28_11 Depth=1
	v_add_f32_e64 v5, |v10|, |v10|
	v_mul_f32_e32 v6, 0x3fb8aa3b, v5
	v_cmp_ngt_f32_e32 vcc_lo, 0xc2ce8ed0, v5
	v_rndne_f32_e32 v7, v6
	v_fma_f32 v8, 0x3fb8aa3b, v5, -v6
	v_sub_f32_e32 v6, v6, v7
	v_fmac_f32_e32 v8, 0x32a5705f, v5
	v_cvt_i32_f32_e32 v7, v7
	v_add_f32_e32 v6, v6, v8
	v_exp_f32_e32 v6, v6
	v_ldexp_f32 v6, v6, v7
	v_cndmask_b32_e32 v6, 0, v6, vcc_lo
	v_cmp_nlt_f32_e32 vcc_lo, 0x42b17218, v5
	v_cndmask_b32_e32 v5, 0x7f800000, v6, vcc_lo
	v_add_f32_e32 v5, 1.0, v5
	v_rcp_f32_e32 v5, v5
	v_fma_f32 v5, v5, -2.0, 1.0
.LBB28_17:                              ;   in Loop: Header=BB28_11 Depth=1
	s_andn2_saveexec_b32 s18, s18
	s_cbranch_execz .LBB28_19
; %bb.18:                               ;   in Loop: Header=BB28_11 Depth=1
	v_mul_f32_e32 v5, v10, v10
	v_fmaak_f32 v6, s15, v5, 0x3ca908c9
	v_fmaak_f32 v6, v5, v6, 0xbd5c1c4e
	;; [unrolled: 1-line block ×4, first 2 shown]
	v_mul_f32_e64 v6, |v10|, v6
	v_fma_f32 v5, v5, v6, |v10|
.LBB28_19:                              ;   in Loop: Header=BB28_11 Depth=1
	s_or_b32 exec_lo, exec_lo, s18
	global_load_ushort v8, v[1:2], off offset:64
	s_mul_hi_i32 s19, s6, s8
	s_mul_i32 s18, s6, s8
	s_waitcnt vmcnt(0)
	s_lshl_b64 s[18:19], s[18:19], 2
	s_barrier
	s_add_u32 s18, s12, s18
	s_addc_u32 s19, s13, s19
	v_add_co_u32 v1, vcc_lo, s18, v43
	v_add_co_ci_u32_e64 v2, null, s19, v44, vcc_lo
	v_add_co_u32 v6, vcc_lo, s18, v45
	v_add_co_ci_u32_e64 v7, null, s19, v46, vcc_lo
	v_add_co_u32 v1, vcc_lo, v1, v57
	v_add_co_ci_u32_e64 v2, null, 0, v2, vcc_lo
	v_add_co_u32 v6, vcc_lo, v6, v57
	v_add_co_ci_u32_e64 v7, null, 0, v7, vcc_lo
	buffer_gl0_inv
	s_clause 0x3
	global_load_dwordx4 v[11:14], v[1:2], off
	global_load_dwordx4 v[26:29], v[1:2], off offset:512
	global_load_dwordx4 v[78:81], v[6:7], off
	global_load_dwordx4 v[82:85], v[6:7], off offset:512
	v_bfi_b32 v1, 0x7fffffff, v3, v9
	v_bfi_b32 v2, 0x7fffffff, v5, v10
	v_xor_b32_e32 v69, 16, v52
	v_xor_b32_e32 v68, 8, v52
	;; [unrolled: 1-line block ×3, first 2 shown]
	v_fma_mix_f32 v1, s14, v1, v4 op_sel_hi:[0,0,1]
	v_xor_b32_e32 v71, 2, v52
	v_cmp_gt_i32_e32 vcc_lo, 32, v69
	v_xor_b32_e32 v72, 1, v52
	s_or_b32 s18, s6, 8
	v_add_f32_e32 v4, 0x40051340, v1
	s_mul_hi_i32 s19, s18, s8
	v_cndmask_b32_e32 v3, v52, v69, vcc_lo
	v_cmp_gt_i32_e32 vcc_lo, 32, v68
	s_mul_i32 s18, s18, s8
	v_add_nc_u32_e32 v75, 0x800, v50
	s_lshl_b64 s[18:19], s[18:19], 2
	v_lshlrev_b32_e32 v3, 2, v3
	s_add_u32 s18, s12, s18
	s_addc_u32 s19, s13, s19
	v_add_nc_u32_e32 v74, 0x1000, v50
	v_add_nc_u32_e32 v73, 0x1800, v50
	v_fma_mix_f32 v2, s14, v2, v8 op_sel_hi:[0,0,1]
	v_add_f32_e32 v5, 0x40051340, v2
	v_max3_f32 v4, v25, v4, v5
	v_cndmask_b32_e32 v5, v52, v68, vcc_lo
	v_cmp_gt_i32_e32 vcc_lo, 32, v70
	ds_bpermute_b32 v3, v3, v4
	v_lshlrev_b32_e32 v5, 2, v5
	s_waitcnt lgkmcnt(0)
	v_max_f32_e32 v3, v3, v3
	v_max_f32_e32 v3, v4, v3
	ds_bpermute_b32 v4, v5, v3
	v_cndmask_b32_e32 v5, v52, v70, vcc_lo
	v_cmp_gt_i32_e32 vcc_lo, 32, v71
	v_lshlrev_b32_e32 v5, 2, v5
	s_waitcnt lgkmcnt(0)
	v_max_f32_e32 v4, v4, v4
	v_max_f32_e32 v3, v3, v4
	ds_bpermute_b32 v4, v5, v3
	v_cndmask_b32_e32 v5, v52, v71, vcc_lo
	v_cmp_gt_i32_e32 vcc_lo, 32, v72
	v_lshlrev_b32_e32 v5, 2, v5
	s_waitcnt lgkmcnt(0)
	v_max_f32_e32 v4, v4, v4
	v_max_f32_e32 v3, v3, v4
	ds_bpermute_b32 v4, v5, v3
	v_cndmask_b32_e32 v5, v52, v72, vcc_lo
	v_lshlrev_b32_e32 v5, 2, v5
	s_waitcnt lgkmcnt(0)
	v_max_f32_e32 v4, v4, v4
	v_max_f32_e32 v3, v3, v4
	ds_bpermute_b32 v4, v5, v3
	s_waitcnt lgkmcnt(0)
	v_max_f32_e32 v4, v4, v4
	v_max_f32_e32 v47, v3, v4
	v_sub_f32_e32 v1, v1, v47
	v_sub_f32_e32 v2, v2, v47
	;; [unrolled: 1-line block ×3, first 2 shown]
	v_mul_f32_e32 v3, 0x3fb8aa3b, v1
	v_mul_f32_e32 v4, 0x3fb8aa3b, v2
	v_fma_f32 v5, 0x3fb8aa3b, v1, -v3
	v_rndne_f32_e32 v6, v3
	v_fma_f32 v7, 0x3fb8aa3b, v2, -v4
	v_rndne_f32_e32 v8, v4
	v_fmac_f32_e32 v5, 0x32a5705f, v1
	v_sub_f32_e32 v3, v3, v6
	v_fmac_f32_e32 v7, 0x32a5705f, v2
	v_sub_f32_e32 v4, v4, v8
	v_add_f32_e32 v3, v3, v5
	v_cvt_i32_f32_e32 v5, v6
	v_add_f32_e32 v4, v4, v7
	v_cvt_i32_f32_e32 v6, v8
	v_exp_f32_e32 v3, v3
	v_exp_f32_e32 v4, v4
	v_ldexp_f32 v3, v3, v5
	v_add_co_u32 v5, vcc_lo, s18, v43
	v_ldexp_f32 v4, v4, v6
	v_add_co_ci_u32_e64 v6, null, s19, v44, vcc_lo
	v_cmp_ngt_f32_e32 vcc_lo, 0xc2ce8ed0, v1
	v_cndmask_b32_e32 v3, 0, v3, vcc_lo
	v_cmp_ngt_f32_e32 vcc_lo, 0xc2ce8ed0, v2
	v_cndmask_b32_e32 v4, 0, v4, vcc_lo
	v_add_co_u32 v7, vcc_lo, s18, v45
	v_add_co_ci_u32_e64 v8, null, s19, v46, vcc_lo
	v_cmp_nlt_f32_e32 vcc_lo, 0x42b17218, v1
	s_or_b32 s18, s6, 16
	s_mul_hi_i32 s19, s18, s8
	s_mul_i32 s18, s18, s8
	v_cndmask_b32_e32 v76, 0x7f800000, v3, vcc_lo
	v_cmp_nlt_f32_e32 vcc_lo, 0x42b17218, v2
	s_lshl_b64 s[18:19], s[18:19], 2
	s_add_u32 s18, s12, s18
	v_cvt_f16_f32_e32 v1, v76
	v_cndmask_b32_e32 v77, 0x7f800000, v4, vcc_lo
	v_add_co_u32 v30, vcc_lo, v5, v57
	v_add_co_ci_u32_e64 v31, null, 0, v6, vcc_lo
	v_add_co_u32 v139, vcc_lo, v7, v57
	v_cvt_f16_f32_e32 v2, v77
	v_add_co_ci_u32_e64 v140, null, 0, v8, vcc_lo
	ds_write_b16 v61, v1
	ds_write_b16 v61, v2 offset:64
	s_waitcnt vmcnt(3)
	ds_write_b128 v60, v[11:14]
	s_waitcnt vmcnt(2)
	ds_write_b128 v62, v[26:29]
	;; [unrolled: 2-line block ×4, first 2 shown]
	s_waitcnt lgkmcnt(0)
	s_barrier
	buffer_gl0_inv
	ds_read_b128 v[26:29], v59
	ds_read2_b64 v[79:82], v50 offset0:64 offset1:96
	ds_read2_b64 v[83:86], v50 offset1:32
	ds_read2_b64 v[87:90], v50 offset0:128 offset1:160
	ds_read2_b64 v[91:94], v50 offset0:192 offset1:224
	ds_read2_b64 v[95:98], v75 offset1:32
	ds_read2_b64 v[99:102], v75 offset0:64 offset1:96
	ds_read2_b64 v[103:106], v75 offset0:128 offset1:160
	ds_read2_b64 v[107:110], v75 offset0:192 offset1:224
	ds_read2_b64 v[111:114], v74 offset1:32
	ds_read2_b64 v[115:118], v74 offset0:64 offset1:96
	;; [unrolled: 4-line block ×3, first 2 shown]
	ds_read2_b64 v[1:4], v73 offset0:128 offset1:160
	ds_read2_b64 v[9:12], v73 offset0:192 offset1:224
	s_waitcnt lgkmcnt(0)
	s_barrier
	buffer_gl0_inv
	s_clause 0x3
	global_load_dwordx4 v[127:130], v[30:31], off
	global_load_dwordx4 v[131:134], v[30:31], off offset:512
	global_load_dwordx4 v[135:138], v[139:140], off
	global_load_dwordx4 v[139:142], v[139:140], off offset:512
	v_mul_f32_e32 v30, 0x3fb8aa3b, v25
	v_cmp_ngt_f32_e32 vcc_lo, 0xc2ce8ed0, v25
	s_addc_u32 s19, s13, s19
	v_mul_u32_u24_sdwa v151, v29, v66 dst_sel:DWORD dst_unused:UNUSED_PAD src0_sel:WORD_0 src1_sel:DWORD
	v_mul_u32_u24_sdwa v152, v29, v66 dst_sel:DWORD dst_unused:UNUSED_PAD src0_sel:WORD_1 src1_sel:DWORD
	v_fma_f32 v31, 0x3fb8aa3b, v25, -v30
	v_rndne_f32_e32 v32, v30
	s_waitcnt vmcnt(3)
	ds_write_b128 v60, v[127:130]
	s_waitcnt vmcnt(2)
	ds_write_b128 v62, v[131:134]
	;; [unrolled: 2-line block ×4, first 2 shown]
	v_fmac_f32_e32 v31, 0x32a5705f, v25
	v_sub_f32_e32 v30, v30, v32
	s_waitcnt lgkmcnt(0)
	s_barrier
	buffer_gl0_inv
	v_add_f32_e32 v30, v30, v31
	v_cvt_i32_f32_e32 v31, v32
	v_exp_f32_e32 v30, v30
	v_ldexp_f32 v30, v30, v31
	v_cndmask_b32_e32 v30, 0, v30, vcc_lo
	v_add_co_u32 v31, vcc_lo, s18, v43
	v_add_co_ci_u32_e64 v32, null, s19, v44, vcc_lo
	v_cmp_nlt_f32_e32 vcc_lo, 0x42b17218, v25
	v_cndmask_b32_e32 v78, 0x7f800000, v30, vcc_lo
	v_add_co_u32 v25, vcc_lo, s18, v45
	v_add_co_ci_u32_e64 v30, null, s19, v46, vcc_lo
	v_cvt_f16_f32_e32 v145, v78
	v_add_co_u32 v143, vcc_lo, v31, v57
	v_add_co_ci_u32_e64 v144, null, 0, v32, vcc_lo
	v_mul_u32_u24_sdwa v31, v145, v66 dst_sel:DWORD dst_unused:UNUSED_PAD src0_sel:WORD_0 src1_sel:DWORD
	v_add_co_u32 v145, vcc_lo, v25, v57
	v_mul_u32_u24_sdwa v25, v26, v66 dst_sel:DWORD dst_unused:UNUSED_PAD src0_sel:WORD_0 src1_sel:DWORD
	v_mul_u32_u24_sdwa v26, v26, v66 dst_sel:DWORD dst_unused:UNUSED_PAD src0_sel:WORD_1 src1_sel:DWORD
	v_pk_mul_f16 v19, v19, v31
	v_pk_mul_f16 v20, v20, v31
	;; [unrolled: 1-line block ×6, first 2 shown]
	v_pk_fma_f16 v19, v79, v25, v19
	v_pk_fma_f16 v20, v80, v25, v20
	;; [unrolled: 1-line block ×4, first 2 shown]
	v_pk_mul_f16 v29, v83, v25
	v_pk_fma_f16 v22, v85, v25, v22
	v_pk_fma_f16 v23, v86, v25, v23
	v_pk_mul_f16 v25, v84, v25
	v_add_co_ci_u32_e64 v146, null, 0, v30, vcc_lo
	v_pk_fma_f16 v21, v21, v31, v29
	v_mul_u32_u24_sdwa v30, v27, v66 dst_sel:DWORD dst_unused:UNUSED_PAD src0_sel:WORD_0 src1_sel:DWORD
	v_pk_fma_f16 v24, v24, v31, v25
	v_pk_fma_f16 v19, v91, v26, v19
	;; [unrolled: 1-line block ×9, first 2 shown]
	v_mul_u32_u24_sdwa v27, v27, v66 dst_sel:DWORD dst_unused:UNUSED_PAD src0_sel:WORD_1 src1_sel:DWORD
	v_pk_fma_f16 v19, v99, v30, v19
	v_pk_fma_f16 v20, v100, v30, v20
	;; [unrolled: 1-line block ×8, first 2 shown]
	v_mul_u32_u24_sdwa v32, v28, v66 dst_sel:DWORD dst_unused:UNUSED_PAD src0_sel:WORD_0 src1_sel:DWORD
	v_pk_fma_f16 v22, v105, v27, v22
	v_pk_fma_f16 v23, v106, v27, v23
	v_pk_fma_f16 v19, v107, v27, v19
	v_pk_fma_f16 v20, v108, v27, v20
	v_pk_fma_f16 v18, v109, v27, v18
	v_pk_fma_f16 v17, v110, v27, v17
	v_pk_fma_f16 v21, v103, v27, v21
	v_pk_fma_f16 v24, v104, v27, v24
	v_mul_u32_u24_sdwa v28, v28, v66 dst_sel:DWORD dst_unused:UNUSED_PAD src0_sel:WORD_1 src1_sel:DWORD
	v_pk_fma_f16 v22, v113, v32, v22
	v_pk_fma_f16 v23, v114, v32, v23
	;; [unrolled: 1-line block ×16, first 2 shown]
	ds_read_b128 v[79:82], v59 offset:16
	ds_read2_b64 v[83:86], v50 offset1:32
	ds_read2_b64 v[87:90], v50 offset0:64 offset1:96
	ds_read2_b64 v[91:94], v50 offset0:128 offset1:160
	ds_read2_b64 v[95:98], v50 offset0:192 offset1:224
	ds_read2_b64 v[99:102], v75 offset1:32
	ds_read2_b64 v[103:106], v75 offset0:64 offset1:96
	ds_read2_b64 v[107:110], v75 offset0:128 offset1:160
	ds_read2_b64 v[111:114], v75 offset0:192 offset1:224
	;; [unrolled: 4-line block ×4, first 2 shown]
	s_waitcnt lgkmcnt(0)
	s_barrier
	buffer_gl0_inv
	s_clause 0x3
	global_load_dwordx4 v[131:134], v[143:144], off
	global_load_dwordx4 v[135:138], v[143:144], off offset:512
	global_load_dwordx4 v[139:142], v[145:146], off
	global_load_dwordx4 v[143:146], v[145:146], off offset:512
	v_pk_fma_f16 v13, v13, v151, v147
	v_pk_fma_f16 v14, v14, v151, v148
	;; [unrolled: 1-line block ×8, first 2 shown]
	s_or_b32 s18, s6, 24
	v_pk_fma_f16 v3, v3, v152, v7
	v_pk_fma_f16 v4, v4, v152, v8
	;; [unrolled: 1-line block ×8, first 2 shown]
	v_mul_u32_u24_sdwa v5, v79, v66 dst_sel:DWORD dst_unused:UNUSED_PAD src0_sel:WORD_0 src1_sel:DWORD
	v_mul_u32_u24_sdwa v6, v79, v66 dst_sel:DWORD dst_unused:UNUSED_PAD src0_sel:WORD_1 src1_sel:DWORD
	v_mul_u32_u24_sdwa v11, v80, v66 dst_sel:DWORD dst_unused:UNUSED_PAD src0_sel:WORD_0 src1_sel:DWORD
	s_mul_hi_i32 s19, s18, s8
	s_mul_i32 s18, s18, s8
	v_pk_fma_f16 v1, v83, v5, v1
	v_pk_fma_f16 v2, v84, v5, v2
	;; [unrolled: 1-line block ×16, first 2 shown]
	s_lshl_b64 s[18:19], s[18:19], 2
	v_mul_u32_u24_sdwa v12, v80, v66 dst_sel:DWORD dst_unused:UNUSED_PAD src0_sel:WORD_1 src1_sel:DWORD
	v_pk_fma_f16 v1, v99, v11, v1
	v_pk_fma_f16 v2, v100, v11, v2
	;; [unrolled: 1-line block ×8, first 2 shown]
	s_add_u32 s18, s12, s18
	s_addc_u32 s19, s13, s19
	v_add_co_u32 v157, vcc_lo, s18, v43
	v_add_co_ci_u32_e64 v158, null, s19, v44, vcc_lo
	v_add_co_u32 v153, vcc_lo, s18, v45
	v_mul_u32_u24_sdwa v13, v81, v66 dst_sel:DWORD dst_unused:UNUSED_PAD src0_sel:WORD_0 src1_sel:DWORD
	v_pk_fma_f16 v1, v107, v12, v1
	v_pk_fma_f16 v2, v108, v12, v2
	;; [unrolled: 1-line block ×8, first 2 shown]
	v_add_co_ci_u32_e64 v154, null, s19, v46, vcc_lo
	v_add_co_u32 v147, vcc_lo, v157, v57
	v_add_co_ci_u32_e64 v148, null, 0, v158, vcc_lo
	v_add_co_u32 v149, vcc_lo, v153, v57
	v_mul_u32_u24_sdwa v14, v81, v66 dst_sel:DWORD dst_unused:UNUSED_PAD src0_sel:WORD_1 src1_sel:DWORD
	v_pk_fma_f16 v1, v115, v13, v1
	v_pk_fma_f16 v2, v116, v13, v2
	;; [unrolled: 1-line block ×8, first 2 shown]
	v_add_co_ci_u32_e64 v150, null, 0, v154, vcc_lo
	v_mul_u32_u24_sdwa v151, v82, v66 dst_sel:DWORD dst_unused:UNUSED_PAD src0_sel:WORD_0 src1_sel:DWORD
	v_mul_u32_u24_sdwa v152, v82, v66 dst_sel:DWORD dst_unused:UNUSED_PAD src0_sel:WORD_1 src1_sel:DWORD
	v_pk_fma_f16 v153, v123, v14, v1
	v_pk_fma_f16 v154, v124, v14, v2
	;; [unrolled: 1-line block ×24, first 2 shown]
	s_or_b32 s18, s6, 32
	s_waitcnt vmcnt(3)
	ds_write_b128 v60, v[131:134]
	s_waitcnt vmcnt(2)
	ds_write_b128 v62, v[135:138]
	;; [unrolled: 2-line block ×4, first 2 shown]
	s_waitcnt lgkmcnt(0)
	s_barrier
	buffer_gl0_inv
	ds_read_b128 v[79:82], v59 offset:32
	ds_read2_b64 v[83:86], v50 offset1:32
	ds_read2_b64 v[87:90], v50 offset0:64 offset1:96
	ds_read2_b64 v[91:94], v50 offset0:128 offset1:160
	ds_read2_b64 v[95:98], v50 offset0:192 offset1:224
	ds_read2_b64 v[99:102], v75 offset1:32
	ds_read2_b64 v[103:106], v75 offset0:64 offset1:96
	ds_read2_b64 v[107:110], v75 offset0:128 offset1:160
	ds_read2_b64 v[111:114], v75 offset0:192 offset1:224
	;; [unrolled: 4-line block ×4, first 2 shown]
	s_waitcnt lgkmcnt(0)
	s_barrier
	buffer_gl0_inv
	s_clause 0x3
	global_load_dwordx4 v[131:134], v[147:148], off
	global_load_dwordx4 v[135:138], v[147:148], off offset:512
	global_load_dwordx4 v[139:142], v[149:150], off
	global_load_dwordx4 v[143:146], v[149:150], off offset:512
	v_mul_u32_u24_sdwa v25, v79, v66 dst_sel:DWORD dst_unused:UNUSED_PAD src0_sel:WORD_0 src1_sel:DWORD
	v_mul_u32_u24_sdwa v26, v79, v66 dst_sel:DWORD dst_unused:UNUSED_PAD src0_sel:WORD_1 src1_sel:DWORD
	v_mul_u32_u24_sdwa v27, v80, v66 dst_sel:DWORD dst_unused:UNUSED_PAD src0_sel:WORD_0 src1_sel:DWORD
	s_mul_hi_i32 s19, s18, s8
	s_mul_i32 s18, s18, s8
	v_pk_fma_f16 v17, v83, v25, v17
	v_pk_fma_f16 v18, v84, v25, v18
	;; [unrolled: 1-line block ×16, first 2 shown]
	s_lshl_b64 s[18:19], s[18:19], 2
	v_mul_u32_u24_sdwa v28, v80, v66 dst_sel:DWORD dst_unused:UNUSED_PAD src0_sel:WORD_1 src1_sel:DWORD
	v_pk_fma_f16 v17, v99, v27, v17
	v_pk_fma_f16 v18, v100, v27, v18
	;; [unrolled: 1-line block ×8, first 2 shown]
	s_add_u32 s18, s12, s18
	s_addc_u32 s19, s13, s19
	v_add_co_u32 v147, vcc_lo, s18, v43
	v_add_co_ci_u32_e64 v148, null, s19, v44, vcc_lo
	v_add_co_u32 v149, vcc_lo, s18, v45
	v_mul_u32_u24_sdwa v29, v81, v66 dst_sel:DWORD dst_unused:UNUSED_PAD src0_sel:WORD_0 src1_sel:DWORD
	v_pk_fma_f16 v17, v107, v28, v17
	v_pk_fma_f16 v18, v108, v28, v18
	;; [unrolled: 1-line block ×8, first 2 shown]
	v_add_co_ci_u32_e64 v150, null, s19, v46, vcc_lo
	v_add_co_u32 v147, vcc_lo, v147, v57
	v_add_co_ci_u32_e64 v148, null, 0, v148, vcc_lo
	v_add_co_u32 v149, vcc_lo, v149, v57
	v_mul_u32_u24_sdwa v30, v81, v66 dst_sel:DWORD dst_unused:UNUSED_PAD src0_sel:WORD_1 src1_sel:DWORD
	v_pk_fma_f16 v17, v115, v29, v17
	v_pk_fma_f16 v18, v116, v29, v18
	;; [unrolled: 1-line block ×8, first 2 shown]
	v_add_co_ci_u32_e64 v150, null, 0, v150, vcc_lo
	v_mul_u32_u24_sdwa v151, v82, v66 dst_sel:DWORD dst_unused:UNUSED_PAD src0_sel:WORD_0 src1_sel:DWORD
	v_mul_u32_u24_sdwa v152, v82, v66 dst_sel:DWORD dst_unused:UNUSED_PAD src0_sel:WORD_1 src1_sel:DWORD
	v_pk_fma_f16 v153, v123, v30, v17
	v_pk_fma_f16 v154, v124, v30, v18
	;; [unrolled: 1-line block ×24, first 2 shown]
	s_or_b32 s18, s6, 40
	s_waitcnt vmcnt(3)
	ds_write_b128 v60, v[131:134]
	s_waitcnt vmcnt(2)
	ds_write_b128 v62, v[135:138]
	;; [unrolled: 2-line block ×4, first 2 shown]
	s_waitcnt lgkmcnt(0)
	s_barrier
	buffer_gl0_inv
	ds_read_b128 v[79:82], v59 offset:48
	ds_read2_b64 v[83:86], v50 offset1:32
	ds_read2_b64 v[87:90], v50 offset0:64 offset1:96
	ds_read2_b64 v[91:94], v50 offset0:128 offset1:160
	ds_read2_b64 v[95:98], v50 offset0:192 offset1:224
	ds_read2_b64 v[99:102], v75 offset1:32
	ds_read2_b64 v[103:106], v75 offset0:64 offset1:96
	ds_read2_b64 v[107:110], v75 offset0:128 offset1:160
	ds_read2_b64 v[111:114], v75 offset0:192 offset1:224
	;; [unrolled: 4-line block ×4, first 2 shown]
	s_waitcnt lgkmcnt(0)
	s_barrier
	buffer_gl0_inv
	s_clause 0x3
	global_load_dwordx4 v[131:134], v[147:148], off
	global_load_dwordx4 v[135:138], v[147:148], off offset:512
	global_load_dwordx4 v[139:142], v[149:150], off
	global_load_dwordx4 v[143:146], v[149:150], off offset:512
	v_mul_u32_u24_sdwa v9, v79, v66 dst_sel:DWORD dst_unused:UNUSED_PAD src0_sel:WORD_0 src1_sel:DWORD
	v_mul_u32_u24_sdwa v10, v79, v66 dst_sel:DWORD dst_unused:UNUSED_PAD src0_sel:WORD_1 src1_sel:DWORD
	v_mul_u32_u24_sdwa v11, v80, v66 dst_sel:DWORD dst_unused:UNUSED_PAD src0_sel:WORD_0 src1_sel:DWORD
	s_mul_hi_i32 s19, s18, s8
	s_mul_i32 s18, s18, s8
	v_pk_fma_f16 v1, v83, v9, v1
	v_pk_fma_f16 v2, v84, v9, v2
	;; [unrolled: 1-line block ×16, first 2 shown]
	s_lshl_b64 s[18:19], s[18:19], 2
	v_mul_u32_u24_sdwa v12, v80, v66 dst_sel:DWORD dst_unused:UNUSED_PAD src0_sel:WORD_1 src1_sel:DWORD
	v_pk_fma_f16 v1, v99, v11, v1
	v_pk_fma_f16 v2, v100, v11, v2
	;; [unrolled: 1-line block ×8, first 2 shown]
	s_add_u32 s24, s12, s18
	s_addc_u32 s18, s13, s19
	v_add_co_u32 v147, vcc_lo, s24, v43
	v_add_co_ci_u32_e64 v148, null, s18, v44, vcc_lo
	v_add_co_u32 v149, vcc_lo, s24, v45
	v_mul_u32_u24_sdwa v13, v81, v66 dst_sel:DWORD dst_unused:UNUSED_PAD src0_sel:WORD_0 src1_sel:DWORD
	v_pk_fma_f16 v1, v107, v12, v1
	v_pk_fma_f16 v2, v108, v12, v2
	;; [unrolled: 1-line block ×8, first 2 shown]
	v_add_co_ci_u32_e64 v150, null, s18, v46, vcc_lo
	v_add_co_u32 v147, vcc_lo, v147, v57
	v_add_co_ci_u32_e64 v148, null, 0, v148, vcc_lo
	v_add_co_u32 v149, vcc_lo, v149, v57
	v_mul_u32_u24_sdwa v14, v81, v66 dst_sel:DWORD dst_unused:UNUSED_PAD src0_sel:WORD_1 src1_sel:DWORD
	v_pk_fma_f16 v1, v115, v13, v1
	v_pk_fma_f16 v2, v116, v13, v2
	;; [unrolled: 1-line block ×8, first 2 shown]
	v_add_co_ci_u32_e64 v150, null, 0, v150, vcc_lo
	v_mul_u32_u24_sdwa v151, v82, v66 dst_sel:DWORD dst_unused:UNUSED_PAD src0_sel:WORD_0 src1_sel:DWORD
	v_mul_u32_u24_sdwa v152, v82, v66 dst_sel:DWORD dst_unused:UNUSED_PAD src0_sel:WORD_1 src1_sel:DWORD
	v_pk_fma_f16 v153, v123, v14, v1
	v_pk_fma_f16 v154, v124, v14, v2
	;; [unrolled: 1-line block ×24, first 2 shown]
	s_or_b32 s18, s6, 48
	s_waitcnt vmcnt(3)
	ds_write_b128 v60, v[131:134]
	s_waitcnt vmcnt(2)
	ds_write_b128 v62, v[135:138]
	;; [unrolled: 2-line block ×4, first 2 shown]
	s_waitcnt lgkmcnt(0)
	s_barrier
	buffer_gl0_inv
	ds_read_b128 v[1:4], v59 offset:64
	ds_read2_b64 v[5:8], v50 offset1:32
	ds_read2_b64 v[9:12], v50 offset0:64 offset1:96
	ds_read2_b64 v[13:16], v50 offset0:128 offset1:160
	ds_read2_b64 v[79:82], v50 offset0:192 offset1:224
	ds_read2_b64 v[83:86], v75 offset1:32
	ds_read2_b64 v[87:90], v75 offset0:64 offset1:96
	ds_read2_b64 v[91:94], v75 offset0:128 offset1:160
	ds_read2_b64 v[95:98], v75 offset0:192 offset1:224
	;; [unrolled: 4-line block ×4, first 2 shown]
	s_waitcnt lgkmcnt(0)
	s_barrier
	buffer_gl0_inv
	s_clause 0x3
	global_load_dwordx4 v[131:134], v[147:148], off
	global_load_dwordx4 v[135:138], v[147:148], off offset:512
	global_load_dwordx4 v[139:142], v[149:150], off
	global_load_dwordx4 v[143:146], v[149:150], off offset:512
	v_mul_u32_u24_sdwa v25, v1, v66 dst_sel:DWORD dst_unused:UNUSED_PAD src0_sel:WORD_0 src1_sel:DWORD
	v_mul_u32_u24_sdwa v1, v1, v66 dst_sel:DWORD dst_unused:UNUSED_PAD src0_sel:WORD_1 src1_sel:DWORD
	v_mul_u32_u24_sdwa v26, v2, v66 dst_sel:DWORD dst_unused:UNUSED_PAD src0_sel:WORD_0 src1_sel:DWORD
	s_mul_hi_i32 s19, s18, s8
	s_mul_i32 s18, s18, s8
	v_pk_fma_f16 v5, v5, v25, v17
	v_pk_fma_f16 v6, v6, v25, v18
	;; [unrolled: 1-line block ×16, first 2 shown]
	s_lshl_b64 s[18:19], s[18:19], 2
	v_mul_u32_u24_sdwa v2, v2, v66 dst_sel:DWORD dst_unused:UNUSED_PAD src0_sel:WORD_1 src1_sel:DWORD
	v_pk_fma_f16 v5, v83, v26, v5
	v_pk_fma_f16 v6, v84, v26, v6
	;; [unrolled: 1-line block ×8, first 2 shown]
	s_add_u32 s18, s12, s18
	s_addc_u32 s19, s13, s19
	v_add_co_u32 v147, vcc_lo, s18, v43
	v_add_co_ci_u32_e64 v148, null, s19, v44, vcc_lo
	v_add_co_u32 v149, vcc_lo, s18, v45
	v_mul_u32_u24_sdwa v27, v3, v66 dst_sel:DWORD dst_unused:UNUSED_PAD src0_sel:WORD_0 src1_sel:DWORD
	v_pk_fma_f16 v5, v91, v2, v5
	v_pk_fma_f16 v6, v92, v2, v6
	;; [unrolled: 1-line block ×8, first 2 shown]
	v_add_co_ci_u32_e64 v150, null, s19, v46, vcc_lo
	v_add_co_u32 v147, vcc_lo, v147, v57
	v_add_co_ci_u32_e64 v148, null, 0, v148, vcc_lo
	v_add_co_u32 v149, vcc_lo, v149, v57
	v_mul_u32_u24_sdwa v3, v3, v66 dst_sel:DWORD dst_unused:UNUSED_PAD src0_sel:WORD_1 src1_sel:DWORD
	v_pk_fma_f16 v2, v99, v27, v5
	v_pk_fma_f16 v5, v100, v27, v6
	;; [unrolled: 1-line block ×8, first 2 shown]
	v_add_co_ci_u32_e64 v150, null, 0, v150, vcc_lo
	v_pk_fma_f16 v2, v107, v3, v2
	v_pk_fma_f16 v155, v108, v3, v5
	;; [unrolled: 1-line block ×8, first 2 shown]
	s_or_b32 s18, s6, 56
	v_add_f32_e32 v1, v76, v77
	s_mul_hi_i32 s19, s18, s8
	s_mul_i32 s18, s18, s8
	v_mul_u32_u24_sdwa v77, v4, v66 dst_sel:DWORD dst_unused:UNUSED_PAD src0_sel:WORD_0 src1_sel:DWORD
	s_lshl_b64 s[18:19], s[18:19], 2
	v_fmac_f32_e32 v1, v67, v78
	s_add_u32 s18, s12, s18
	s_addc_u32 s19, s13, s19
	v_add_co_u32 v67, vcc_lo, s18, v43
	v_add_co_ci_u32_e64 v76, null, s19, v44, vcc_lo
	v_add_co_u32 v78, vcc_lo, s18, v45
	v_add_co_ci_u32_e64 v154, null, s19, v46, vcc_lo
	v_add_co_u32 v151, vcc_lo, v67, v57
	v_mul_u32_u24_sdwa v4, v4, v66 dst_sel:DWORD dst_unused:UNUSED_PAD src0_sel:WORD_1 src1_sel:DWORD
	v_add_co_ci_u32_e64 v152, null, 0, v76, vcc_lo
	v_add_co_u32 v153, vcc_lo, v78, v57
	v_pk_fma_f16 v2, v115, v77, v2
	v_pk_fma_f16 v67, v116, v77, v155
	;; [unrolled: 1-line block ×16, first 2 shown]
	v_add_co_ci_u32_e64 v154, null, 0, v154, vcc_lo
	s_waitcnt vmcnt(3)
	ds_write_b128 v60, v[131:134]
	s_waitcnt vmcnt(2)
	ds_write_b128 v62, v[135:138]
	;; [unrolled: 2-line block ×4, first 2 shown]
	s_waitcnt lgkmcnt(0)
	s_barrier
	buffer_gl0_inv
	ds_read_b128 v[5:8], v59 offset:80
	ds_read2_b64 v[9:12], v50 offset1:32
	ds_read2_b64 v[13:16], v50 offset0:64 offset1:96
	ds_read2_b64 v[17:20], v50 offset0:128 offset1:160
	ds_read2_b64 v[21:24], v50 offset0:192 offset1:224
	ds_read2_b64 v[25:28], v75 offset1:32
	ds_read2_b64 v[29:32], v75 offset0:64 offset1:96
	ds_read2_b64 v[79:82], v75 offset0:128 offset1:160
	ds_read2_b64 v[83:86], v75 offset0:192 offset1:224
	;; [unrolled: 4-line block ×4, first 2 shown]
	s_waitcnt lgkmcnt(0)
	s_barrier
	buffer_gl0_inv
	s_clause 0x3
	global_load_dwordx4 v[135:138], v[147:148], off
	global_load_dwordx4 v[139:142], v[147:148], off offset:512
	global_load_dwordx4 v[143:146], v[149:150], off
	global_load_dwordx4 v[147:150], v[149:150], off offset:512
	v_mul_u32_u24_sdwa v4, v5, v66 dst_sel:DWORD dst_unused:UNUSED_PAD src0_sel:WORD_0 src1_sel:DWORD
	v_mul_u32_u24_sdwa v5, v5, v66 dst_sel:DWORD dst_unused:UNUSED_PAD src0_sel:WORD_1 src1_sel:DWORD
	v_mul_u32_u24_sdwa v118, v7, v66 dst_sel:DWORD dst_unused:UNUSED_PAD src0_sel:WORD_0 src1_sel:DWORD
	v_mul_u32_u24_sdwa v155, v7, v66 dst_sel:DWORD dst_unused:UNUSED_PAD src0_sel:WORD_1 src1_sel:DWORD
	v_mul_u32_u24_sdwa v156, v8, v66 dst_sel:DWORD dst_unused:UNUSED_PAD src0_sel:WORD_0 src1_sel:DWORD
	v_mul_u32_u24_sdwa v157, v8, v66 dst_sel:DWORD dst_unused:UNUSED_PAD src0_sel:WORD_1 src1_sel:DWORD
	v_pk_fma_f16 v2, v9, v4, v2
	v_pk_fma_f16 v7, v10, v4, v67
	;; [unrolled: 1-line block ×4, first 2 shown]
	v_mul_u32_u24_sdwa v117, v6, v66 dst_sel:DWORD dst_unused:UNUSED_PAD src0_sel:WORD_0 src1_sel:DWORD
	v_pk_fma_f16 v10, v13, v4, v78
	v_pk_fma_f16 v11, v14, v4, v115
	;; [unrolled: 1-line block ×8, first 2 shown]
	v_mul_u32_u24_sdwa v6, v6, v66 dst_sel:DWORD dst_unused:UNUSED_PAD src0_sel:WORD_1 src1_sel:DWORD
	v_pk_fma_f16 v9, v21, v5, v10
	v_pk_fma_f16 v10, v22, v5, v11
	;; [unrolled: 1-line block ×52, first 2 shown]
	s_waitcnt vmcnt(3)
	ds_write_b128 v60, v[135:138]
	s_waitcnt vmcnt(2)
	ds_write_b128 v62, v[139:142]
	;; [unrolled: 2-line block ×4, first 2 shown]
	s_waitcnt lgkmcnt(0)
	s_barrier
	buffer_gl0_inv
	ds_read_b128 v[2:5], v59 offset:96
	ds_read2_b64 v[6:9], v50 offset1:32
	ds_read2_b64 v[10:13], v50 offset0:64 offset1:96
	ds_read2_b64 v[14:17], v50 offset0:128 offset1:160
	ds_read2_b64 v[18:21], v50 offset0:192 offset1:224
	ds_read2_b64 v[22:25], v75 offset1:32
	ds_read2_b64 v[26:29], v75 offset0:64 offset1:96
	ds_read2_b64 v[76:79], v75 offset0:128 offset1:160
	ds_read2_b64 v[80:83], v75 offset0:192 offset1:224
	;; [unrolled: 4-line block ×4, first 2 shown]
	s_waitcnt lgkmcnt(0)
	s_barrier
	buffer_gl0_inv
	s_clause 0x3
	global_load_dwordx4 v[139:142], v[151:152], off
	global_load_dwordx4 v[143:146], v[151:152], off offset:512
	global_load_dwordx4 v[147:150], v[153:154], off
	global_load_dwordx4 v[151:154], v[153:154], off offset:512
	v_mul_u32_u24_sdwa v100, v2, v66 dst_sel:DWORD dst_unused:UNUSED_PAD src0_sel:WORD_0 src1_sel:DWORD
	v_mul_u32_u24_sdwa v2, v2, v66 dst_sel:DWORD dst_unused:UNUSED_PAD src0_sel:WORD_1 src1_sel:DWORD
	v_mul_u32_u24_sdwa v131, v5, v66 dst_sel:DWORD dst_unused:UNUSED_PAD src0_sel:WORD_0 src1_sel:DWORD
	v_mul_u32_u24_sdwa v132, v5, v66 dst_sel:DWORD dst_unused:UNUSED_PAD src0_sel:WORD_1 src1_sel:DWORD
	v_mul_u32_u24_sdwa v101, v3, v66 dst_sel:DWORD dst_unused:UNUSED_PAD src0_sel:WORD_0 src1_sel:DWORD
	v_pk_fma_f16 v5, v6, v100, v99
	v_pk_fma_f16 v6, v7, v100, v96
	;; [unrolled: 1-line block ×16, first 2 shown]
	v_mul_u32_u24_sdwa v3, v3, v66 dst_sel:DWORD dst_unused:UNUSED_PAD src0_sel:WORD_1 src1_sel:DWORD
	v_pk_fma_f16 v5, v22, v101, v5
	v_pk_fma_f16 v6, v23, v101, v6
	;; [unrolled: 1-line block ×8, first 2 shown]
	v_mul_u32_u24_sdwa v102, v4, v66 dst_sel:DWORD dst_unused:UNUSED_PAD src0_sel:WORD_0 src1_sel:DWORD
	v_pk_fma_f16 v5, v76, v3, v5
	v_pk_fma_f16 v6, v77, v3, v6
	;; [unrolled: 1-line block ×8, first 2 shown]
	v_mul_u32_u24_sdwa v4, v4, v66 dst_sel:DWORD dst_unused:UNUSED_PAD src0_sel:WORD_1 src1_sel:DWORD
	v_pk_fma_f16 v3, v84, v102, v5
	v_pk_fma_f16 v5, v85, v102, v6
	;; [unrolled: 1-line block ×25, first 2 shown]
	s_waitcnt vmcnt(3)
	ds_write_b128 v60, v[139:142]
	s_waitcnt vmcnt(2)
	ds_write_b128 v62, v[143:146]
	;; [unrolled: 2-line block ×4, first 2 shown]
	s_waitcnt lgkmcnt(0)
	s_barrier
	buffer_gl0_inv
	ds_read2_b64 v[2:5], v50 offset1:32
	ds_read2_b64 v[6:9], v50 offset0:64 offset1:96
	ds_read_b128 v[10:13], v59 offset:112
	ds_read2_b64 v[14:17], v50 offset0:128 offset1:160
	ds_read2_b64 v[18:21], v50 offset0:192 offset1:224
	ds_read2_b64 v[22:25], v75 offset1:32
	ds_read2_b64 v[26:29], v75 offset0:64 offset1:96
	ds_read2_b64 v[76:79], v75 offset0:128 offset1:160
	ds_read2_b64 v[80:83], v75 offset0:192 offset1:224
	ds_read2_b64 v[84:87], v74 offset1:32
	ds_read2_b64 v[88:91], v74 offset0:64 offset1:96
	;; [unrolled: 4-line block ×3, first 2 shown]
	ds_read2_b64 v[108:111], v73 offset0:128 offset1:160
	ds_read2_b64 v[112:115], v73 offset0:192 offset1:224
	v_pk_fma_f16 v73, v128, v132, v116
	v_pk_fma_f16 v74, v129, v132, v117
	;; [unrolled: 1-line block ×7, first 2 shown]
	s_waitcnt lgkmcnt(14)
	v_mul_u32_u24_sdwa v117, v10, v66 dst_sel:DWORD dst_unused:UNUSED_PAD src0_sel:WORD_0 src1_sel:DWORD
	v_mul_u32_u24_sdwa v10, v10, v66 dst_sel:DWORD dst_unused:UNUSED_PAD src0_sel:WORD_1 src1_sel:DWORD
	v_mul_u32_u24_sdwa v118, v11, v66 dst_sel:DWORD dst_unused:UNUSED_PAD src0_sel:WORD_0 src1_sel:DWORD
	v_mul_u32_u24_sdwa v11, v11, v66 dst_sel:DWORD dst_unused:UNUSED_PAD src0_sel:WORD_1 src1_sel:DWORD
	s_waitcnt lgkmcnt(0)
	v_pk_fma_f16 v2, v2, v117, v67
	v_pk_fma_f16 v3, v3, v117, v73
	;; [unrolled: 1-line block ×24, first 2 shown]
	s_barrier
	buffer_gl0_inv
	s_load_dword s18, s[0:1], 0x4
	v_mul_u32_u24_sdwa v119, v12, v66 dst_sel:DWORD dst_unused:UNUSED_PAD src0_sel:WORD_0 src1_sel:DWORD
	v_pk_fma_f16 v2, v76, v11, v2
	v_pk_fma_f16 v3, v77, v11, v3
	v_pk_fma_f16 v4, v78, v11, v4
	v_pk_fma_f16 v5, v79, v11, v5
	v_pk_fma_f16 v6, v80, v11, v6
	v_pk_fma_f16 v7, v81, v11, v7
	v_pk_fma_f16 v8, v82, v11, v8
	v_pk_fma_f16 v9, v83, v11, v9
	v_mul_u32_u24_sdwa v12, v12, v66 dst_sel:DWORD dst_unused:UNUSED_PAD src0_sel:WORD_1 src1_sel:DWORD
	v_pk_fma_f16 v2, v84, v119, v2
	v_pk_fma_f16 v3, v85, v119, v3
	;; [unrolled: 1-line block ×8, first 2 shown]
	v_mul_u32_u24_sdwa v120, v13, v66 dst_sel:DWORD dst_unused:UNUSED_PAD src0_sel:WORD_0 src1_sel:DWORD
	v_pk_fma_f16 v2, v92, v12, v2
	v_pk_fma_f16 v3, v93, v12, v3
	;; [unrolled: 1-line block ×8, first 2 shown]
	v_mul_u32_u24_sdwa v13, v13, v66 dst_sel:DWORD dst_unused:UNUSED_PAD src0_sel:WORD_1 src1_sel:DWORD
	v_pk_fma_f16 v2, v100, v120, v2
	v_pk_fma_f16 v3, v101, v120, v3
	;; [unrolled: 1-line block ×8, first 2 shown]
	s_waitcnt lgkmcnt(0)
	s_lshl_b32 s18, s18, 6
	v_pk_fma_f16 v21, v108, v13, v2
	v_pk_fma_f16 v24, v109, v13, v3
	;; [unrolled: 1-line block ×8, first 2 shown]
	s_add_i32 s6, s18, s6
	s_cmp_ge_i32 s6, s30
	s_cbranch_scc1 .LBB28_21
; %bb.20:                               ;   in Loop: Header=BB28_11 Depth=1
	v_mov_b32_e32 v25, v47
	v_mov_b32_e32 v67, v1
	s_branch .LBB28_11
.LBB28_21:
	v_mov_b32_e32 v2, 32
	v_mov_b32_e32 v3, v52
.LBB28_22:
	v_cmp_lt_i32_e32 vcc_lo, v69, v2
	s_cmp_lg_u64 s[16:17], 0
	s_cselect_b32 s0, -1, 0
	s_cmp_eq_u32 s28, 0
	v_cndmask_b32_e32 v4, v3, v69, vcc_lo
	v_cmp_lt_i32_e32 vcc_lo, v68, v2
	s_cselect_b32 s1, -1, 0
	s_and_b32 s0, s1, s0
	v_lshlrev_b32_e32 v4, 2, v4
	v_cndmask_b32_e32 v5, v3, v68, vcc_lo
	v_cmp_lt_i32_e32 vcc_lo, v70, v2
	ds_bpermute_b32 v4, v4, v1
	v_lshlrev_b32_e32 v5, 2, v5
	s_waitcnt lgkmcnt(0)
	v_add_f32_e32 v1, v1, v4
	ds_bpermute_b32 v4, v5, v1
	v_cndmask_b32_e32 v5, v3, v70, vcc_lo
	v_cmp_lt_i32_e32 vcc_lo, v71, v2
	v_lshlrev_b32_e32 v5, 2, v5
	s_waitcnt lgkmcnt(0)
	v_add_f32_e32 v1, v1, v4
	ds_bpermute_b32 v4, v5, v1
	v_cndmask_b32_e32 v5, v3, v71, vcc_lo
	v_cmp_lt_i32_e32 vcc_lo, v72, v2
	v_lshlrev_b32_e32 v5, 2, v5
	v_cndmask_b32_e32 v2, v3, v72, vcc_lo
	s_and_b32 vcc_lo, exec_lo, s0
	v_lshlrev_b32_e32 v2, 2, v2
	s_waitcnt lgkmcnt(0)
	v_add_f32_e32 v1, v1, v4
	ds_bpermute_b32 v4, v5, v1
	s_waitcnt lgkmcnt(0)
	v_add_f32_e32 v3, v1, v4
	v_add_nc_u32_e32 v1, s29, v48
	ds_bpermute_b32 v2, v2, v3
	s_waitcnt lgkmcnt(0)
	v_add_f32_e32 v48, v3, v2
	s_cbranch_vccz .LBB28_24
; %bb.23:
	v_ashrrev_i32_e32 v2, 31, v1
	v_lshlrev_b64 v[2:3], 2, v[1:2]
	v_add_co_u32 v2, vcc_lo, s16, v2
	v_add_co_ci_u32_e64 v3, null, s17, v3, vcc_lo
	global_load_dword v2, v[2:3], off
	v_max_f32_e32 v3, v47, v47
	s_waitcnt vmcnt(0)
	v_max_f32_e32 v4, v2, v2
	v_max_f32_e32 v3, v3, v4
	v_sub_f32_e32 v4, v47, v3
	v_sub_f32_e32 v2, v2, v3
	v_mov_b32_e32 v47, v3
	v_mul_f32_e32 v5, 0x3fb8aa3b, v4
	v_mul_f32_e32 v6, 0x3fb8aa3b, v2
	v_cmp_ngt_f32_e32 vcc_lo, 0xc2ce8ed0, v4
	v_fma_f32 v7, 0x3fb8aa3b, v4, -v5
	v_rndne_f32_e32 v8, v5
	v_fma_f32 v9, 0x3fb8aa3b, v2, -v6
	v_rndne_f32_e32 v10, v6
	v_fmac_f32_e32 v7, 0x32a5705f, v4
	v_sub_f32_e32 v5, v5, v8
	v_fmac_f32_e32 v9, 0x32a5705f, v2
	v_sub_f32_e32 v6, v6, v10
	v_add_f32_e32 v5, v5, v7
	v_cvt_i32_f32_e32 v7, v8
	v_add_f32_e32 v6, v6, v9
	v_cvt_i32_f32_e32 v8, v10
	v_exp_f32_e32 v5, v5
	v_exp_f32_e32 v6, v6
	v_ldexp_f32 v5, v5, v7
	v_ldexp_f32 v6, v6, v8
	v_cndmask_b32_e32 v5, 0, v5, vcc_lo
	v_cmp_ngt_f32_e32 vcc_lo, 0xc2ce8ed0, v2
	v_cndmask_b32_e32 v6, 0, v6, vcc_lo
	v_cmp_nlt_f32_e32 vcc_lo, 0x42b17218, v4
	v_cndmask_b32_e32 v4, 0x7f800000, v5, vcc_lo
	v_cmp_nlt_f32_e32 vcc_lo, 0x42b17218, v2
	v_mov_b32_e32 v5, 0x10001
	v_cndmask_b32_e32 v2, 0x7f800000, v6, vcc_lo
	v_cvt_f16_f32_e32 v6, v4
	v_fmac_f32_e32 v2, v48, v4
	v_mul_u32_u24_sdwa v4, v6, v5 dst_sel:DWORD dst_unused:UNUSED_PAD src0_sel:WORD_0 src1_sel:DWORD
	v_mov_b32_e32 v48, v2
	v_pk_mul_f16 v21, v21, v4
	v_pk_mul_f16 v24, v24, v4
	;; [unrolled: 1-line block ×8, first 2 shown]
.LBB28_24:
	v_div_scale_f32 v4, null, v48, v48, 1.0
	s_load_dword s1, s[4:5], 0xd4
	v_mad_u64_u32 v[2:3], null, s7, s2, v[33:34]
	v_rcp_f32_e32 v5, v4
	v_div_scale_f32 v6, vcc_lo, 1.0, v48, 1.0
	v_cmp_eq_u32_e64 s0, 0, v0
	v_mov_b32_e32 v14, 0
	v_cvt_f32_f16_sdwa v7, v24 dst_sel:DWORD dst_unused:UNUSED_PAD src0_sel:WORD_1
	v_mad_u64_u32 v[0:1], null, v2, s3, v[1:2]
	v_cvt_f32_f16_e32 v8, v24
	v_mov_b32_e32 v2, v14
	v_fma_f32 v3, -v4, v5, 1.0
	v_cvt_f32_f16_sdwa v15, v23 dst_sel:DWORD dst_unused:UNUSED_PAD src0_sel:WORD_1
	v_cvt_f32_f16_e32 v16, v23
	v_mov_b32_e32 v10, v14
	v_cvt_f32_f16_sdwa v27, v19 dst_sel:DWORD dst_unused:UNUSED_PAD src0_sel:WORD_1
	v_fmac_f32_e32 v5, v3, v5
	v_cvt_f32_f16_e32 v28, v19
	s_waitcnt lgkmcnt(0)
	v_mad_u64_u32 v[0:1], null, s1, v0, s[28:29]
	s_cmp_lg_u32 s1, 1
	v_mul_f32_e32 v3, v6, v5
	s_cselect_b32 s1, -1, 0
	v_cvt_f32_f16_sdwa v25, v20 dst_sel:DWORD dst_unused:UNUSED_PAD src0_sel:WORD_1
	v_cvt_f32_f16_e32 v26, v20
	v_cvt_f32_f16_sdwa v11, v21 dst_sel:DWORD dst_unused:UNUSED_PAD src0_sel:WORD_1
	v_fma_f32 v1, -v4, v3, v6
	v_lshl_or_b32 v13, v0, 9, v49
	v_cvt_f32_f16_e32 v12, v21
	v_cvt_f32_f16_sdwa v23, v22 dst_sel:DWORD dst_unused:UNUSED_PAD src0_sel:WORD_1
	v_cvt_f32_f16_e32 v24, v22
	v_fmac_f32_e32 v3, v1, v5
	v_add_nc_u32_e32 v1, 0x80, v13
	v_add_nc_u32_e32 v9, 0x100, v13
	s_and_b32 s0, s0, s1
	v_fma_f32 v4, -v4, v3, v6
	v_lshlrev_b64 v[1:2], 2, v[1:2]
	v_div_fmas_f32 v5, v4, v5, v3
	v_lshlrev_b64 v[3:4], 2, v[13:14]
	v_add_nc_u32_e32 v13, 0x180, v13
	v_div_fixup_f32 v5, v5, v48, 1.0
	v_add_co_u32 v19, vcc_lo, s20, v3
	v_add_co_ci_u32_e64 v20, null, s21, v4, vcc_lo
	v_cndmask_b32_e64 v29, v5, 1.0, s1
	v_add_co_u32 v21, vcc_lo, s20, v1
	v_add_co_ci_u32_e64 v22, null, s21, v2, vcc_lo
	v_mul_f32_e32 v4, v29, v7
	v_mul_f32_e32 v3, v29, v8
	;; [unrolled: 1-line block ×4, first 2 shown]
	v_lshlrev_b64 v[15:16], 2, v[9:10]
	v_mul_f32_e32 v2, v29, v11
	v_mul_f32_e32 v1, v29, v12
	;; [unrolled: 1-line block ×6, first 2 shown]
	v_add_co_u32 v23, vcc_lo, s20, v15
	v_cvt_f32_f16_sdwa v15, v17 dst_sel:DWORD dst_unused:UNUSED_PAD src0_sel:WORD_1
	v_cvt_f32_f16_e32 v25, v17
	v_cvt_f32_f16_sdwa v26, v18 dst_sel:DWORD dst_unused:UNUSED_PAD src0_sel:WORD_1
	v_cvt_f32_f16_e32 v27, v18
	v_lshlrev_b64 v[17:18], 2, v[13:14]
	v_mul_f32_e32 v5, v29, v24
	v_add_co_ci_u32_e64 v24, null, s21, v16, vcc_lo
	v_mul_f32_e32 v16, v29, v15
	v_mul_f32_e32 v15, v29, v25
	v_add_co_u32 v17, vcc_lo, s20, v17
	v_mul_f32_e32 v14, v29, v26
	v_mul_f32_e32 v13, v29, v27
	v_add_co_ci_u32_e64 v18, null, s21, v18, vcc_lo
	v_mul_f32_e32 v9, v29, v28
	global_store_dwordx4 v[19:20], v[1:4], off
	global_store_dwordx4 v[21:22], v[5:8], off
	;; [unrolled: 1-line block ×4, first 2 shown]
	s_and_saveexec_b32 s1, s0
	s_cbranch_execz .LBB28_26
; %bb.25:
	v_ashrrev_i32_e32 v1, 31, v0
	v_lshlrev_b64 v[0:1], 3, v[0:1]
	v_add_co_u32 v0, vcc_lo, s22, v0
	v_add_co_ci_u32_e64 v1, null, s23, v1, vcc_lo
	global_store_dwordx2 v[0:1], v[47:48], off
.LBB28_26:
	s_endpgm
	.section	.rodata,"a",@progbits
	.p2align	6, 0x0
	.amdhsa_kernel _ZL15flash_attn_tileILi576ELi512ELi1ELi4ELb1EEvPKcS1_S1_S1_S1_PKiPfP15HIP_vector_typeIfLj2EEffffjfiS5_IjLj3EEiiiiiiiiiiiliiliiiiil
		.amdhsa_group_segment_fixed_size 14336
		.amdhsa_private_segment_fixed_size 0
		.amdhsa_kernarg_size 464
		.amdhsa_user_sgpr_count 6
		.amdhsa_user_sgpr_private_segment_buffer 1
		.amdhsa_user_sgpr_dispatch_ptr 0
		.amdhsa_user_sgpr_queue_ptr 0
		.amdhsa_user_sgpr_kernarg_segment_ptr 1
		.amdhsa_user_sgpr_dispatch_id 0
		.amdhsa_user_sgpr_flat_scratch_init 0
		.amdhsa_user_sgpr_private_segment_size 0
		.amdhsa_wavefront_size32 1
		.amdhsa_uses_dynamic_stack 0
		.amdhsa_system_sgpr_private_segment_wavefront_offset 0
		.amdhsa_system_sgpr_workgroup_id_x 1
		.amdhsa_system_sgpr_workgroup_id_y 1
		.amdhsa_system_sgpr_workgroup_id_z 1
		.amdhsa_system_sgpr_workgroup_info 0
		.amdhsa_system_vgpr_workitem_id 1
		.amdhsa_next_free_vgpr 161
		.amdhsa_next_free_sgpr 41
		.amdhsa_reserve_vcc 1
		.amdhsa_reserve_flat_scratch 0
		.amdhsa_float_round_mode_32 0
		.amdhsa_float_round_mode_16_64 0
		.amdhsa_float_denorm_mode_32 3
		.amdhsa_float_denorm_mode_16_64 3
		.amdhsa_dx10_clamp 1
		.amdhsa_ieee_mode 1
		.amdhsa_fp16_overflow 0
		.amdhsa_workgroup_processor_mode 1
		.amdhsa_memory_ordered 1
		.amdhsa_forward_progress 1
		.amdhsa_shared_vgpr_count 0
		.amdhsa_exception_fp_ieee_invalid_op 0
		.amdhsa_exception_fp_denorm_src 0
		.amdhsa_exception_fp_ieee_div_zero 0
		.amdhsa_exception_fp_ieee_overflow 0
		.amdhsa_exception_fp_ieee_underflow 0
		.amdhsa_exception_fp_ieee_inexact 0
		.amdhsa_exception_int_div_zero 0
	.end_amdhsa_kernel
	.section	.text._ZL15flash_attn_tileILi576ELi512ELi1ELi4ELb1EEvPKcS1_S1_S1_S1_PKiPfP15HIP_vector_typeIfLj2EEffffjfiS5_IjLj3EEiiiiiiiiiiiliiliiiiil,"axG",@progbits,_ZL15flash_attn_tileILi576ELi512ELi1ELi4ELb1EEvPKcS1_S1_S1_S1_PKiPfP15HIP_vector_typeIfLj2EEffffjfiS5_IjLj3EEiiiiiiiiiiiliiliiiiil,comdat
.Lfunc_end28:
	.size	_ZL15flash_attn_tileILi576ELi512ELi1ELi4ELb1EEvPKcS1_S1_S1_S1_PKiPfP15HIP_vector_typeIfLj2EEffffjfiS5_IjLj3EEiiiiiiiiiiiliiliiiiil, .Lfunc_end28-_ZL15flash_attn_tileILi576ELi512ELi1ELi4ELb1EEvPKcS1_S1_S1_S1_PKiPfP15HIP_vector_typeIfLj2EEffffjfiS5_IjLj3EEiiiiiiiiiiiliiliiiiil
                                        ; -- End function
	.set _ZL15flash_attn_tileILi576ELi512ELi1ELi4ELb1EEvPKcS1_S1_S1_S1_PKiPfP15HIP_vector_typeIfLj2EEffffjfiS5_IjLj3EEiiiiiiiiiiiliiliiiiil.num_vgpr, 161
	.set _ZL15flash_attn_tileILi576ELi512ELi1ELi4ELb1EEvPKcS1_S1_S1_S1_PKiPfP15HIP_vector_typeIfLj2EEffffjfiS5_IjLj3EEiiiiiiiiiiiliiliiiiil.num_agpr, 0
	.set _ZL15flash_attn_tileILi576ELi512ELi1ELi4ELb1EEvPKcS1_S1_S1_S1_PKiPfP15HIP_vector_typeIfLj2EEffffjfiS5_IjLj3EEiiiiiiiiiiiliiliiiiil.numbered_sgpr, 41
	.set _ZL15flash_attn_tileILi576ELi512ELi1ELi4ELb1EEvPKcS1_S1_S1_S1_PKiPfP15HIP_vector_typeIfLj2EEffffjfiS5_IjLj3EEiiiiiiiiiiiliiliiiiil.num_named_barrier, 0
	.set _ZL15flash_attn_tileILi576ELi512ELi1ELi4ELb1EEvPKcS1_S1_S1_S1_PKiPfP15HIP_vector_typeIfLj2EEffffjfiS5_IjLj3EEiiiiiiiiiiiliiliiiiil.private_seg_size, 0
	.set _ZL15flash_attn_tileILi576ELi512ELi1ELi4ELb1EEvPKcS1_S1_S1_S1_PKiPfP15HIP_vector_typeIfLj2EEffffjfiS5_IjLj3EEiiiiiiiiiiiliiliiiiil.uses_vcc, 1
	.set _ZL15flash_attn_tileILi576ELi512ELi1ELi4ELb1EEvPKcS1_S1_S1_S1_PKiPfP15HIP_vector_typeIfLj2EEffffjfiS5_IjLj3EEiiiiiiiiiiiliiliiiiil.uses_flat_scratch, 0
	.set _ZL15flash_attn_tileILi576ELi512ELi1ELi4ELb1EEvPKcS1_S1_S1_S1_PKiPfP15HIP_vector_typeIfLj2EEffffjfiS5_IjLj3EEiiiiiiiiiiiliiliiiiil.has_dyn_sized_stack, 0
	.set _ZL15flash_attn_tileILi576ELi512ELi1ELi4ELb1EEvPKcS1_S1_S1_S1_PKiPfP15HIP_vector_typeIfLj2EEffffjfiS5_IjLj3EEiiiiiiiiiiiliiliiiiil.has_recursion, 0
	.set _ZL15flash_attn_tileILi576ELi512ELi1ELi4ELb1EEvPKcS1_S1_S1_S1_PKiPfP15HIP_vector_typeIfLj2EEffffjfiS5_IjLj3EEiiiiiiiiiiiliiliiiiil.has_indirect_call, 0
	.section	.AMDGPU.csdata,"",@progbits
; Kernel info:
; codeLenInByte = 26404
; TotalNumSgprs: 43
; NumVgprs: 161
; ScratchSize: 0
; MemoryBound: 0
; FloatMode: 240
; IeeeMode: 1
; LDSByteSize: 14336 bytes/workgroup (compile time only)
; SGPRBlocks: 0
; VGPRBlocks: 20
; NumSGPRsForWavesPerEU: 43
; NumVGPRsForWavesPerEU: 161
; Occupancy: 5
; WaveLimiterHint : 1
; COMPUTE_PGM_RSRC2:SCRATCH_EN: 0
; COMPUTE_PGM_RSRC2:USER_SGPR: 6
; COMPUTE_PGM_RSRC2:TRAP_HANDLER: 0
; COMPUTE_PGM_RSRC2:TGID_X_EN: 1
; COMPUTE_PGM_RSRC2:TGID_Y_EN: 1
; COMPUTE_PGM_RSRC2:TGID_Z_EN: 1
; COMPUTE_PGM_RSRC2:TIDIG_COMP_CNT: 1
	.section	.AMDGPU.gpr_maximums,"",@progbits
	.set amdgpu.max_num_vgpr, 0
	.set amdgpu.max_num_agpr, 0
	.set amdgpu.max_num_sgpr, 0
	.section	.AMDGPU.csdata,"",@progbits
	.type	__hip_cuid_2b87b642a10640d8,@object ; @__hip_cuid_2b87b642a10640d8
	.section	.bss,"aw",@nobits
	.globl	__hip_cuid_2b87b642a10640d8
__hip_cuid_2b87b642a10640d8:
	.byte	0                               ; 0x0
	.size	__hip_cuid_2b87b642a10640d8, 1

	.ident	"AMD clang version 22.0.0git (https://github.com/RadeonOpenCompute/llvm-project roc-7.2.4 26084 f58b06dce1f9c15707c5f808fd002e18c2accf7e)"
	.section	".note.GNU-stack","",@progbits
	.addrsig
	.addrsig_sym __hip_cuid_2b87b642a10640d8
	.amdgpu_metadata
---
amdhsa.kernels:
  - .args:
      - .address_space:  global
        .offset:         0
        .size:           8
        .value_kind:     global_buffer
      - .address_space:  global
        .offset:         8
        .size:           8
        .value_kind:     global_buffer
      - .address_space:  global
        .offset:         16
        .size:           8
        .value_kind:     global_buffer
      - .address_space:  global
        .offset:         24
        .size:           8
        .value_kind:     global_buffer
      - .address_space:  global
        .offset:         32
        .size:           8
        .value_kind:     global_buffer
      - .address_space:  global
        .offset:         40
        .size:           8
        .value_kind:     global_buffer
      - .address_space:  global
        .offset:         48
        .size:           8
        .value_kind:     global_buffer
      - .address_space:  global
        .offset:         56
        .size:           8
        .value_kind:     global_buffer
      - .offset:         64
        .size:           4
        .value_kind:     by_value
      - .offset:         68
        .size:           4
        .value_kind:     by_value
      - .offset:         72
        .size:           4
        .value_kind:     by_value
      - .offset:         76
        .size:           4
        .value_kind:     by_value
      - .offset:         80
        .size:           4
        .value_kind:     by_value
      - .offset:         84
        .size:           4
        .value_kind:     by_value
      - .offset:         88
        .size:           4
        .value_kind:     by_value
      - .offset:         92
        .size:           12
        .value_kind:     by_value
      - .offset:         104
        .size:           4
        .value_kind:     by_value
      - .offset:         108
        .size:           4
        .value_kind:     by_value
      - .offset:         112
        .size:           4
        .value_kind:     by_value
      - .offset:         116
        .size:           4
        .value_kind:     by_value
      - .offset:         120
        .size:           4
        .value_kind:     by_value
      - .offset:         124
        .size:           4
        .value_kind:     by_value
      - .offset:         128
        .size:           4
        .value_kind:     by_value
      - .offset:         132
        .size:           4
        .value_kind:     by_value
      - .offset:         136
        .size:           4
        .value_kind:     by_value
      - .offset:         140
        .size:           4
        .value_kind:     by_value
      - .offset:         144
        .size:           4
        .value_kind:     by_value
      - .offset:         152
        .size:           8
        .value_kind:     by_value
      - .offset:         160
        .size:           4
        .value_kind:     by_value
      - .offset:         164
        .size:           4
        .value_kind:     by_value
      - .offset:         168
        .size:           8
        .value_kind:     by_value
      - .offset:         176
        .size:           4
        .value_kind:     by_value
      - .offset:         180
        .size:           4
        .value_kind:     by_value
      - .offset:         184
        .size:           4
        .value_kind:     by_value
      - .offset:         188
        .size:           4
        .value_kind:     by_value
      - .offset:         192
        .size:           4
        .value_kind:     by_value
      - .offset:         200
        .size:           8
        .value_kind:     by_value
      - .offset:         208
        .size:           4
        .value_kind:     hidden_block_count_x
      - .offset:         212
        .size:           4
        .value_kind:     hidden_block_count_y
      - .offset:         216
        .size:           4
        .value_kind:     hidden_block_count_z
      - .offset:         220
        .size:           2
        .value_kind:     hidden_group_size_x
      - .offset:         222
        .size:           2
        .value_kind:     hidden_group_size_y
      - .offset:         224
        .size:           2
        .value_kind:     hidden_group_size_z
      - .offset:         226
        .size:           2
        .value_kind:     hidden_remainder_x
      - .offset:         228
        .size:           2
        .value_kind:     hidden_remainder_y
      - .offset:         230
        .size:           2
        .value_kind:     hidden_remainder_z
      - .offset:         248
        .size:           8
        .value_kind:     hidden_global_offset_x
      - .offset:         256
        .size:           8
        .value_kind:     hidden_global_offset_y
      - .offset:         264
        .size:           8
        .value_kind:     hidden_global_offset_z
      - .offset:         272
        .size:           2
        .value_kind:     hidden_grid_dims
    .group_segment_fixed_size: 63488
    .kernarg_segment_align: 8
    .kernarg_segment_size: 464
    .language:       OpenCL C
    .language_version:
      - 2
      - 0
    .max_flat_workgroup_size: 256
    .name:           _ZL15flash_attn_tileILi576ELi512ELi2ELi16ELb0EEvPKcS1_S1_S1_S1_PKiPfP15HIP_vector_typeIfLj2EEffffjfiS5_IjLj3EEiiiiiiiiiiiliiliiiiil
    .private_segment_fixed_size: 0
    .sgpr_count:     43
    .sgpr_spill_count: 0
    .symbol:         _ZL15flash_attn_tileILi576ELi512ELi2ELi16ELb0EEvPKcS1_S1_S1_S1_PKiPfP15HIP_vector_typeIfLj2EEffffjfiS5_IjLj3EEiiiiiiiiiiiliiliiiiil.kd
    .uniform_work_group_size: 1
    .uses_dynamic_stack: false
    .vgpr_count:     202
    .vgpr_spill_count: 0
    .wavefront_size: 32
    .workgroup_processor_mode: 1
  - .args:
      - .actual_access:  read_only
        .address_space:  global
        .offset:         0
        .size:           8
        .value_kind:     global_buffer
      - .actual_access:  write_only
        .address_space:  global
        .offset:         8
        .size:           8
        .value_kind:     global_buffer
      - .offset:         16
        .size:           4
        .value_kind:     by_value
      - .offset:         20
        .size:           4
        .value_kind:     by_value
      - .offset:         24
        .size:           4
        .value_kind:     by_value
      - .offset:         32
        .size:           4
        .value_kind:     hidden_block_count_x
      - .offset:         36
        .size:           4
        .value_kind:     hidden_block_count_y
      - .offset:         40
        .size:           4
        .value_kind:     hidden_block_count_z
      - .offset:         44
        .size:           2
        .value_kind:     hidden_group_size_x
      - .offset:         46
        .size:           2
        .value_kind:     hidden_group_size_y
      - .offset:         48
        .size:           2
        .value_kind:     hidden_group_size_z
      - .offset:         50
        .size:           2
        .value_kind:     hidden_remainder_x
      - .offset:         52
        .size:           2
        .value_kind:     hidden_remainder_y
      - .offset:         54
        .size:           2
        .value_kind:     hidden_remainder_z
      - .offset:         72
        .size:           8
        .value_kind:     hidden_global_offset_x
      - .offset:         80
        .size:           8
        .value_kind:     hidden_global_offset_y
      - .offset:         88
        .size:           8
        .value_kind:     hidden_global_offset_z
      - .offset:         96
        .size:           2
        .value_kind:     hidden_grid_dims
    .group_segment_fixed_size: 128
    .kernarg_segment_align: 8
    .kernarg_segment_size: 288
    .language:       OpenCL C
    .language_version:
      - 2
      - 0
    .max_flat_workgroup_size: 128
    .name:           _ZL25flash_attn_mask_to_KV_maxILi2EEvPK7__half2Piiii
    .private_segment_fixed_size: 0
    .sgpr_count:     18
    .sgpr_spill_count: 0
    .symbol:         _ZL25flash_attn_mask_to_KV_maxILi2EEvPK7__half2Piiii.kd
    .uniform_work_group_size: 1
    .uses_dynamic_stack: false
    .vgpr_count:     8
    .vgpr_spill_count: 0
    .wavefront_size: 32
    .workgroup_processor_mode: 1
  - .args:
      - .address_space:  global
        .offset:         0
        .size:           8
        .value_kind:     global_buffer
      - .address_space:  global
        .offset:         8
        .size:           8
        .value_kind:     global_buffer
      - .offset:         16
        .size:           4
        .value_kind:     by_value
      - .offset:         20
        .size:           4
        .value_kind:     by_value
      - .offset:         24
        .size:           4
        .value_kind:     by_value
      - .offset:         28
        .size:           4
        .value_kind:     by_value
      - .offset:         32
        .size:           4
        .value_kind:     by_value
      - .offset:         36
        .size:           4
        .value_kind:     by_value
      - .offset:         40
        .size:           12
        .value_kind:     by_value
      - .offset:         52
        .size:           12
        .value_kind:     by_value
      - .offset:         64
        .size:           12
        .value_kind:     by_value
    .group_segment_fixed_size: 0
    .kernarg_segment_align: 8
    .kernarg_segment_size: 76
    .language:       OpenCL C
    .language_version:
      - 2
      - 0
    .max_flat_workgroup_size: 512
    .name:           _ZL33flash_attn_stream_k_fixup_uniformILi512ELi2ELi16EEvPfPK15HIP_vector_typeIfLj2EEiiiiiiS1_IjLj3EES5_S5_
    .private_segment_fixed_size: 0
    .sgpr_count:     26
    .sgpr_spill_count: 0
    .symbol:         _ZL33flash_attn_stream_k_fixup_uniformILi512ELi2ELi16EEvPfPK15HIP_vector_typeIfLj2EEiiiiiiS1_IjLj3EES5_S5_.kd
    .uniform_work_group_size: 1
    .uses_dynamic_stack: false
    .vgpr_count:     15
    .vgpr_spill_count: 0
    .wavefront_size: 32
    .workgroup_processor_mode: 1
  - .args:
      - .address_space:  global
        .offset:         0
        .size:           8
        .value_kind:     global_buffer
      - .address_space:  global
        .offset:         8
        .size:           8
        .value_kind:     global_buffer
      - .offset:         16
        .size:           4
        .value_kind:     by_value
      - .offset:         20
        .size:           4
        .value_kind:     by_value
      - .offset:         24
        .size:           4
        .value_kind:     by_value
      - .offset:         28
        .size:           4
        .value_kind:     by_value
      - .offset:         32
        .size:           12
        .value_kind:     by_value
      - .offset:         44
        .size:           12
        .value_kind:     by_value
      - .offset:         56
        .size:           12
        .value_kind:     by_value
      - .offset:         68
        .size:           12
        .value_kind:     by_value
      - .offset:         80
        .size:           4
        .value_kind:     hidden_block_count_x
      - .offset:         84
        .size:           4
        .value_kind:     hidden_block_count_y
      - .offset:         88
        .size:           4
        .value_kind:     hidden_block_count_z
      - .offset:         92
        .size:           2
        .value_kind:     hidden_group_size_x
      - .offset:         94
        .size:           2
        .value_kind:     hidden_group_size_y
      - .offset:         96
        .size:           2
        .value_kind:     hidden_group_size_z
      - .offset:         98
        .size:           2
        .value_kind:     hidden_remainder_x
      - .offset:         100
        .size:           2
        .value_kind:     hidden_remainder_y
      - .offset:         102
        .size:           2
        .value_kind:     hidden_remainder_z
      - .offset:         120
        .size:           8
        .value_kind:     hidden_global_offset_x
      - .offset:         128
        .size:           8
        .value_kind:     hidden_global_offset_y
      - .offset:         136
        .size:           8
        .value_kind:     hidden_global_offset_z
      - .offset:         144
        .size:           2
        .value_kind:     hidden_grid_dims
    .group_segment_fixed_size: 0
    .kernarg_segment_align: 8
    .kernarg_segment_size: 336
    .language:       OpenCL C
    .language_version:
      - 2
      - 0
    .max_flat_workgroup_size: 512
    .name:           _ZL33flash_attn_stream_k_fixup_generalILi512ELi2ELi16EEvPfPK15HIP_vector_typeIfLj2EEiiiiS1_IjLj3EES5_S5_S5_
    .private_segment_fixed_size: 0
    .sgpr_count:     33
    .sgpr_spill_count: 0
    .symbol:         _ZL33flash_attn_stream_k_fixup_generalILi512ELi2ELi16EEvPfPK15HIP_vector_typeIfLj2EEiiiiS1_IjLj3EES5_S5_S5_.kd
    .uniform_work_group_size: 1
    .uses_dynamic_stack: false
    .vgpr_count:     17
    .vgpr_spill_count: 0
    .wavefront_size: 32
    .workgroup_processor_mode: 1
  - .args:
      - .address_space:  global
        .offset:         0
        .size:           8
        .value_kind:     global_buffer
      - .address_space:  global
        .offset:         8
        .size:           8
        .value_kind:     global_buffer
      - .address_space:  global
        .offset:         16
        .size:           8
        .value_kind:     global_buffer
      - .offset:         24
        .size:           4
        .value_kind:     by_value
      - .offset:         32
        .size:           4
        .value_kind:     hidden_block_count_x
      - .offset:         36
        .size:           4
        .value_kind:     hidden_block_count_y
      - .offset:         40
        .size:           4
        .value_kind:     hidden_block_count_z
      - .offset:         44
        .size:           2
        .value_kind:     hidden_group_size_x
      - .offset:         46
        .size:           2
        .value_kind:     hidden_group_size_y
      - .offset:         48
        .size:           2
        .value_kind:     hidden_group_size_z
      - .offset:         50
        .size:           2
        .value_kind:     hidden_remainder_x
      - .offset:         52
        .size:           2
        .value_kind:     hidden_remainder_y
      - .offset:         54
        .size:           2
        .value_kind:     hidden_remainder_z
      - .offset:         72
        .size:           8
        .value_kind:     hidden_global_offset_x
      - .offset:         80
        .size:           8
        .value_kind:     hidden_global_offset_y
      - .offset:         88
        .size:           8
        .value_kind:     hidden_global_offset_z
      - .offset:         96
        .size:           2
        .value_kind:     hidden_grid_dims
      - .offset:         152
        .size:           4
        .value_kind:     hidden_dynamic_lds_size
    .group_segment_fixed_size: 0
    .kernarg_segment_align: 8
    .kernarg_segment_size: 288
    .language:       OpenCL C
    .language_version:
      - 2
      - 0
    .max_flat_workgroup_size: 512
    .name:           _ZL26flash_attn_combine_resultsILi512EEvPKfPK15HIP_vector_typeIfLj2EEPfi
    .private_segment_fixed_size: 0
    .sgpr_count:     20
    .sgpr_spill_count: 0
    .symbol:         _ZL26flash_attn_combine_resultsILi512EEvPKfPK15HIP_vector_typeIfLj2EEPfi.kd
    .uniform_work_group_size: 1
    .uses_dynamic_stack: false
    .vgpr_count:     52
    .vgpr_spill_count: 0
    .wavefront_size: 32
    .workgroup_processor_mode: 1
  - .args:
      - .address_space:  global
        .offset:         0
        .size:           8
        .value_kind:     global_buffer
      - .address_space:  global
        .offset:         8
        .size:           8
        .value_kind:     global_buffer
      - .address_space:  global
        .offset:         16
        .size:           8
        .value_kind:     global_buffer
      - .address_space:  global
        .offset:         24
        .size:           8
        .value_kind:     global_buffer
      - .address_space:  global
        .offset:         32
        .size:           8
        .value_kind:     global_buffer
      - .address_space:  global
        .offset:         40
        .size:           8
        .value_kind:     global_buffer
      - .address_space:  global
        .offset:         48
        .size:           8
        .value_kind:     global_buffer
      - .address_space:  global
        .offset:         56
        .size:           8
        .value_kind:     global_buffer
      - .offset:         64
        .size:           4
        .value_kind:     by_value
      - .offset:         68
        .size:           4
        .value_kind:     by_value
      - .offset:         72
        .size:           4
        .value_kind:     by_value
      - .offset:         76
        .size:           4
        .value_kind:     by_value
      - .offset:         80
        .size:           4
        .value_kind:     by_value
      - .offset:         84
        .size:           4
        .value_kind:     by_value
      - .offset:         88
        .size:           4
        .value_kind:     by_value
      - .offset:         92
        .size:           12
        .value_kind:     by_value
      - .offset:         104
        .size:           4
        .value_kind:     by_value
      - .offset:         108
        .size:           4
        .value_kind:     by_value
      - .offset:         112
        .size:           4
        .value_kind:     by_value
      - .offset:         116
        .size:           4
        .value_kind:     by_value
      - .offset:         120
        .size:           4
        .value_kind:     by_value
      - .offset:         124
        .size:           4
        .value_kind:     by_value
      - .offset:         128
        .size:           4
        .value_kind:     by_value
      - .offset:         132
        .size:           4
        .value_kind:     by_value
      - .offset:         136
        .size:           4
        .value_kind:     by_value
      - .offset:         140
        .size:           4
        .value_kind:     by_value
      - .offset:         144
        .size:           4
        .value_kind:     by_value
      - .offset:         152
        .size:           8
        .value_kind:     by_value
      - .offset:         160
        .size:           4
        .value_kind:     by_value
      - .offset:         164
        .size:           4
        .value_kind:     by_value
      - .offset:         168
        .size:           8
        .value_kind:     by_value
      - .offset:         176
        .size:           4
        .value_kind:     by_value
      - .offset:         180
        .size:           4
        .value_kind:     by_value
      - .offset:         184
        .size:           4
        .value_kind:     by_value
      - .offset:         188
        .size:           4
        .value_kind:     by_value
      - .offset:         192
        .size:           4
        .value_kind:     by_value
      - .offset:         200
        .size:           8
        .value_kind:     by_value
      - .offset:         208
        .size:           4
        .value_kind:     hidden_block_count_x
      - .offset:         212
        .size:           4
        .value_kind:     hidden_block_count_y
      - .offset:         216
        .size:           4
        .value_kind:     hidden_block_count_z
      - .offset:         220
        .size:           2
        .value_kind:     hidden_group_size_x
      - .offset:         222
        .size:           2
        .value_kind:     hidden_group_size_y
      - .offset:         224
        .size:           2
        .value_kind:     hidden_group_size_z
      - .offset:         226
        .size:           2
        .value_kind:     hidden_remainder_x
      - .offset:         228
        .size:           2
        .value_kind:     hidden_remainder_y
      - .offset:         230
        .size:           2
        .value_kind:     hidden_remainder_z
      - .offset:         248
        .size:           8
        .value_kind:     hidden_global_offset_x
      - .offset:         256
        .size:           8
        .value_kind:     hidden_global_offset_y
      - .offset:         264
        .size:           8
        .value_kind:     hidden_global_offset_z
      - .offset:         272
        .size:           2
        .value_kind:     hidden_grid_dims
    .group_segment_fixed_size: 29696
    .kernarg_segment_align: 8
    .kernarg_segment_size: 464
    .language:       OpenCL C
    .language_version:
      - 2
      - 0
    .max_flat_workgroup_size: 256
    .name:           _ZL15flash_attn_tileILi576ELi512ELi1ELi16ELb0EEvPKcS1_S1_S1_S1_PKiPfP15HIP_vector_typeIfLj2EEffffjfiS5_IjLj3EEiiiiiiiiiiiliiliiiiil
    .private_segment_fixed_size: 0
    .sgpr_count:     50
    .sgpr_spill_count: 0
    .symbol:         _ZL15flash_attn_tileILi576ELi512ELi1ELi16ELb0EEvPKcS1_S1_S1_S1_PKiPfP15HIP_vector_typeIfLj2EEffffjfiS5_IjLj3EEiiiiiiiiiiiliiliiiiil.kd
    .uniform_work_group_size: 1
    .uses_dynamic_stack: false
    .vgpr_count:     125
    .vgpr_spill_count: 0
    .wavefront_size: 32
    .workgroup_processor_mode: 1
  - .args:
      - .actual_access:  read_only
        .address_space:  global
        .offset:         0
        .size:           8
        .value_kind:     global_buffer
      - .actual_access:  write_only
        .address_space:  global
        .offset:         8
        .size:           8
        .value_kind:     global_buffer
      - .offset:         16
        .size:           4
        .value_kind:     by_value
      - .offset:         20
        .size:           4
        .value_kind:     by_value
      - .offset:         24
        .size:           4
        .value_kind:     by_value
      - .offset:         32
        .size:           4
        .value_kind:     hidden_block_count_x
      - .offset:         36
        .size:           4
        .value_kind:     hidden_block_count_y
      - .offset:         40
        .size:           4
        .value_kind:     hidden_block_count_z
      - .offset:         44
        .size:           2
        .value_kind:     hidden_group_size_x
      - .offset:         46
        .size:           2
        .value_kind:     hidden_group_size_y
      - .offset:         48
        .size:           2
        .value_kind:     hidden_group_size_z
      - .offset:         50
        .size:           2
        .value_kind:     hidden_remainder_x
      - .offset:         52
        .size:           2
        .value_kind:     hidden_remainder_y
      - .offset:         54
        .size:           2
        .value_kind:     hidden_remainder_z
      - .offset:         72
        .size:           8
        .value_kind:     hidden_global_offset_x
      - .offset:         80
        .size:           8
        .value_kind:     hidden_global_offset_y
      - .offset:         88
        .size:           8
        .value_kind:     hidden_global_offset_z
      - .offset:         96
        .size:           2
        .value_kind:     hidden_grid_dims
    .group_segment_fixed_size: 128
    .kernarg_segment_align: 8
    .kernarg_segment_size: 288
    .language:       OpenCL C
    .language_version:
      - 2
      - 0
    .max_flat_workgroup_size: 128
    .name:           _ZL25flash_attn_mask_to_KV_maxILi1EEvPK7__half2Piiii
    .private_segment_fixed_size: 0
    .sgpr_count:     18
    .sgpr_spill_count: 0
    .symbol:         _ZL25flash_attn_mask_to_KV_maxILi1EEvPK7__half2Piiii.kd
    .uniform_work_group_size: 1
    .uses_dynamic_stack: false
    .vgpr_count:     8
    .vgpr_spill_count: 0
    .wavefront_size: 32
    .workgroup_processor_mode: 1
  - .args:
      - .address_space:  global
        .offset:         0
        .size:           8
        .value_kind:     global_buffer
      - .address_space:  global
        .offset:         8
        .size:           8
        .value_kind:     global_buffer
      - .offset:         16
        .size:           4
        .value_kind:     by_value
      - .offset:         20
        .size:           4
        .value_kind:     by_value
      - .offset:         24
        .size:           4
        .value_kind:     by_value
      - .offset:         28
        .size:           4
        .value_kind:     by_value
      - .offset:         32
        .size:           4
        .value_kind:     by_value
      - .offset:         36
        .size:           4
        .value_kind:     by_value
      - .offset:         40
        .size:           12
        .value_kind:     by_value
      - .offset:         52
        .size:           12
        .value_kind:     by_value
      - .offset:         64
        .size:           12
        .value_kind:     by_value
    .group_segment_fixed_size: 0
    .kernarg_segment_align: 8
    .kernarg_segment_size: 76
    .language:       OpenCL C
    .language_version:
      - 2
      - 0
    .max_flat_workgroup_size: 512
    .name:           _ZL33flash_attn_stream_k_fixup_uniformILi512ELi1ELi16EEvPfPK15HIP_vector_typeIfLj2EEiiiiiiS1_IjLj3EES5_S5_
    .private_segment_fixed_size: 0
    .sgpr_count:     22
    .sgpr_spill_count: 0
    .symbol:         _ZL33flash_attn_stream_k_fixup_uniformILi512ELi1ELi16EEvPfPK15HIP_vector_typeIfLj2EEiiiiiiS1_IjLj3EES5_S5_.kd
    .uniform_work_group_size: 1
    .uses_dynamic_stack: false
    .vgpr_count:     15
    .vgpr_spill_count: 0
    .wavefront_size: 32
    .workgroup_processor_mode: 1
  - .args:
      - .address_space:  global
        .offset:         0
        .size:           8
        .value_kind:     global_buffer
      - .address_space:  global
        .offset:         8
        .size:           8
        .value_kind:     global_buffer
      - .offset:         16
        .size:           4
        .value_kind:     by_value
      - .offset:         20
        .size:           4
        .value_kind:     by_value
      - .offset:         24
        .size:           4
        .value_kind:     by_value
      - .offset:         28
        .size:           4
        .value_kind:     by_value
      - .offset:         32
        .size:           12
        .value_kind:     by_value
      - .offset:         44
        .size:           12
        .value_kind:     by_value
      - .offset:         56
        .size:           12
        .value_kind:     by_value
      - .offset:         68
        .size:           12
        .value_kind:     by_value
      - .offset:         80
        .size:           4
        .value_kind:     hidden_block_count_x
      - .offset:         84
        .size:           4
        .value_kind:     hidden_block_count_y
      - .offset:         88
        .size:           4
        .value_kind:     hidden_block_count_z
      - .offset:         92
        .size:           2
        .value_kind:     hidden_group_size_x
      - .offset:         94
        .size:           2
        .value_kind:     hidden_group_size_y
      - .offset:         96
        .size:           2
        .value_kind:     hidden_group_size_z
      - .offset:         98
        .size:           2
        .value_kind:     hidden_remainder_x
      - .offset:         100
        .size:           2
        .value_kind:     hidden_remainder_y
      - .offset:         102
        .size:           2
        .value_kind:     hidden_remainder_z
      - .offset:         120
        .size:           8
        .value_kind:     hidden_global_offset_x
      - .offset:         128
        .size:           8
        .value_kind:     hidden_global_offset_y
      - .offset:         136
        .size:           8
        .value_kind:     hidden_global_offset_z
      - .offset:         144
        .size:           2
        .value_kind:     hidden_grid_dims
    .group_segment_fixed_size: 0
    .kernarg_segment_align: 8
    .kernarg_segment_size: 336
    .language:       OpenCL C
    .language_version:
      - 2
      - 0
    .max_flat_workgroup_size: 512
    .name:           _ZL33flash_attn_stream_k_fixup_generalILi512ELi1ELi16EEvPfPK15HIP_vector_typeIfLj2EEiiiiS1_IjLj3EES5_S5_S5_
    .private_segment_fixed_size: 0
    .sgpr_count:     34
    .sgpr_spill_count: 0
    .symbol:         _ZL33flash_attn_stream_k_fixup_generalILi512ELi1ELi16EEvPfPK15HIP_vector_typeIfLj2EEiiiiS1_IjLj3EES5_S5_S5_.kd
    .uniform_work_group_size: 1
    .uses_dynamic_stack: false
    .vgpr_count:     17
    .vgpr_spill_count: 0
    .wavefront_size: 32
    .workgroup_processor_mode: 1
  - .args:
      - .address_space:  global
        .offset:         0
        .size:           8
        .value_kind:     global_buffer
      - .address_space:  global
        .offset:         8
        .size:           8
        .value_kind:     global_buffer
      - .address_space:  global
        .offset:         16
        .size:           8
        .value_kind:     global_buffer
      - .address_space:  global
        .offset:         24
        .size:           8
        .value_kind:     global_buffer
      - .address_space:  global
        .offset:         32
        .size:           8
        .value_kind:     global_buffer
      - .address_space:  global
        .offset:         40
        .size:           8
        .value_kind:     global_buffer
      - .address_space:  global
        .offset:         48
        .size:           8
        .value_kind:     global_buffer
      - .address_space:  global
        .offset:         56
        .size:           8
        .value_kind:     global_buffer
      - .offset:         64
        .size:           4
        .value_kind:     by_value
      - .offset:         68
        .size:           4
        .value_kind:     by_value
      - .offset:         72
        .size:           4
        .value_kind:     by_value
      - .offset:         76
        .size:           4
        .value_kind:     by_value
      - .offset:         80
        .size:           4
        .value_kind:     by_value
      - .offset:         84
        .size:           4
        .value_kind:     by_value
      - .offset:         88
        .size:           4
        .value_kind:     by_value
      - .offset:         92
        .size:           12
        .value_kind:     by_value
      - .offset:         104
        .size:           4
        .value_kind:     by_value
      - .offset:         108
        .size:           4
        .value_kind:     by_value
      - .offset:         112
        .size:           4
        .value_kind:     by_value
      - .offset:         116
        .size:           4
        .value_kind:     by_value
      - .offset:         120
        .size:           4
        .value_kind:     by_value
      - .offset:         124
        .size:           4
        .value_kind:     by_value
      - .offset:         128
        .size:           4
        .value_kind:     by_value
      - .offset:         132
        .size:           4
        .value_kind:     by_value
      - .offset:         136
        .size:           4
        .value_kind:     by_value
      - .offset:         140
        .size:           4
        .value_kind:     by_value
      - .offset:         144
        .size:           4
        .value_kind:     by_value
      - .offset:         152
        .size:           8
        .value_kind:     by_value
      - .offset:         160
        .size:           4
        .value_kind:     by_value
      - .offset:         164
        .size:           4
        .value_kind:     by_value
      - .offset:         168
        .size:           8
        .value_kind:     by_value
      - .offset:         176
        .size:           4
        .value_kind:     by_value
      - .offset:         180
        .size:           4
        .value_kind:     by_value
      - .offset:         184
        .size:           4
        .value_kind:     by_value
      - .offset:         188
        .size:           4
        .value_kind:     by_value
      - .offset:         192
        .size:           4
        .value_kind:     by_value
      - .offset:         200
        .size:           8
        .value_kind:     by_value
      - .offset:         208
        .size:           4
        .value_kind:     hidden_block_count_x
      - .offset:         212
        .size:           4
        .value_kind:     hidden_block_count_y
      - .offset:         216
        .size:           4
        .value_kind:     hidden_block_count_z
      - .offset:         220
        .size:           2
        .value_kind:     hidden_group_size_x
      - .offset:         222
        .size:           2
        .value_kind:     hidden_group_size_y
      - .offset:         224
        .size:           2
        .value_kind:     hidden_group_size_z
      - .offset:         226
        .size:           2
        .value_kind:     hidden_remainder_x
      - .offset:         228
        .size:           2
        .value_kind:     hidden_remainder_y
      - .offset:         230
        .size:           2
        .value_kind:     hidden_remainder_z
      - .offset:         248
        .size:           8
        .value_kind:     hidden_global_offset_x
      - .offset:         256
        .size:           8
        .value_kind:     hidden_global_offset_y
      - .offset:         264
        .size:           8
        .value_kind:     hidden_global_offset_z
      - .offset:         272
        .size:           2
        .value_kind:     hidden_grid_dims
    .group_segment_fixed_size: 63488
    .kernarg_segment_align: 8
    .kernarg_segment_size: 464
    .language:       OpenCL C
    .language_version:
      - 2
      - 0
    .max_flat_workgroup_size: 256
    .name:           _ZL15flash_attn_tileILi576ELi512ELi8ELi4ELb0EEvPKcS1_S1_S1_S1_PKiPfP15HIP_vector_typeIfLj2EEffffjfiS5_IjLj3EEiiiiiiiiiiiliiliiiiil
    .private_segment_fixed_size: 0
    .sgpr_count:     43
    .sgpr_spill_count: 0
    .symbol:         _ZL15flash_attn_tileILi576ELi512ELi8ELi4ELb0EEvPKcS1_S1_S1_S1_PKiPfP15HIP_vector_typeIfLj2EEffffjfiS5_IjLj3EEiiiiiiiiiiiliiliiiiil.kd
    .uniform_work_group_size: 1
    .uses_dynamic_stack: false
    .vgpr_count:     201
    .vgpr_spill_count: 0
    .wavefront_size: 32
    .workgroup_processor_mode: 1
  - .args:
      - .actual_access:  read_only
        .address_space:  global
        .offset:         0
        .size:           8
        .value_kind:     global_buffer
      - .actual_access:  write_only
        .address_space:  global
        .offset:         8
        .size:           8
        .value_kind:     global_buffer
      - .offset:         16
        .size:           4
        .value_kind:     by_value
      - .offset:         20
        .size:           4
        .value_kind:     by_value
      - .offset:         24
        .size:           4
        .value_kind:     by_value
      - .offset:         32
        .size:           4
        .value_kind:     hidden_block_count_x
      - .offset:         36
        .size:           4
        .value_kind:     hidden_block_count_y
      - .offset:         40
        .size:           4
        .value_kind:     hidden_block_count_z
      - .offset:         44
        .size:           2
        .value_kind:     hidden_group_size_x
      - .offset:         46
        .size:           2
        .value_kind:     hidden_group_size_y
      - .offset:         48
        .size:           2
        .value_kind:     hidden_group_size_z
      - .offset:         50
        .size:           2
        .value_kind:     hidden_remainder_x
      - .offset:         52
        .size:           2
        .value_kind:     hidden_remainder_y
      - .offset:         54
        .size:           2
        .value_kind:     hidden_remainder_z
      - .offset:         72
        .size:           8
        .value_kind:     hidden_global_offset_x
      - .offset:         80
        .size:           8
        .value_kind:     hidden_global_offset_y
      - .offset:         88
        .size:           8
        .value_kind:     hidden_global_offset_z
      - .offset:         96
        .size:           2
        .value_kind:     hidden_grid_dims
    .group_segment_fixed_size: 128
    .kernarg_segment_align: 8
    .kernarg_segment_size: 288
    .language:       OpenCL C
    .language_version:
      - 2
      - 0
    .max_flat_workgroup_size: 128
    .name:           _ZL25flash_attn_mask_to_KV_maxILi8EEvPK7__half2Piiii
    .private_segment_fixed_size: 0
    .sgpr_count:     29
    .sgpr_spill_count: 0
    .symbol:         _ZL25flash_attn_mask_to_KV_maxILi8EEvPK7__half2Piiii.kd
    .uniform_work_group_size: 1
    .uses_dynamic_stack: false
    .vgpr_count:     10
    .vgpr_spill_count: 0
    .wavefront_size: 32
    .workgroup_processor_mode: 1
  - .args:
      - .address_space:  global
        .offset:         0
        .size:           8
        .value_kind:     global_buffer
      - .address_space:  global
        .offset:         8
        .size:           8
        .value_kind:     global_buffer
      - .offset:         16
        .size:           4
        .value_kind:     by_value
      - .offset:         20
        .size:           4
        .value_kind:     by_value
      - .offset:         24
        .size:           4
        .value_kind:     by_value
      - .offset:         28
        .size:           4
        .value_kind:     by_value
      - .offset:         32
        .size:           4
        .value_kind:     by_value
      - .offset:         36
        .size:           4
        .value_kind:     by_value
      - .offset:         40
        .size:           12
        .value_kind:     by_value
      - .offset:         52
        .size:           12
        .value_kind:     by_value
      - .offset:         64
        .size:           12
        .value_kind:     by_value
    .group_segment_fixed_size: 0
    .kernarg_segment_align: 8
    .kernarg_segment_size: 76
    .language:       OpenCL C
    .language_version:
      - 2
      - 0
    .max_flat_workgroup_size: 512
    .name:           _ZL33flash_attn_stream_k_fixup_uniformILi512ELi8ELi4EEvPfPK15HIP_vector_typeIfLj2EEiiiiiiS1_IjLj3EES5_S5_
    .private_segment_fixed_size: 0
    .sgpr_count:     26
    .sgpr_spill_count: 0
    .symbol:         _ZL33flash_attn_stream_k_fixup_uniformILi512ELi8ELi4EEvPfPK15HIP_vector_typeIfLj2EEiiiiiiS1_IjLj3EES5_S5_.kd
    .uniform_work_group_size: 1
    .uses_dynamic_stack: false
    .vgpr_count:     15
    .vgpr_spill_count: 0
    .wavefront_size: 32
    .workgroup_processor_mode: 1
  - .args:
      - .address_space:  global
        .offset:         0
        .size:           8
        .value_kind:     global_buffer
      - .address_space:  global
        .offset:         8
        .size:           8
        .value_kind:     global_buffer
      - .offset:         16
        .size:           4
        .value_kind:     by_value
      - .offset:         20
        .size:           4
        .value_kind:     by_value
      - .offset:         24
        .size:           4
        .value_kind:     by_value
      - .offset:         28
        .size:           4
        .value_kind:     by_value
      - .offset:         32
        .size:           12
        .value_kind:     by_value
      - .offset:         44
        .size:           12
        .value_kind:     by_value
      - .offset:         56
        .size:           12
        .value_kind:     by_value
      - .offset:         68
        .size:           12
        .value_kind:     by_value
      - .offset:         80
        .size:           4
        .value_kind:     hidden_block_count_x
      - .offset:         84
        .size:           4
        .value_kind:     hidden_block_count_y
      - .offset:         88
        .size:           4
        .value_kind:     hidden_block_count_z
      - .offset:         92
        .size:           2
        .value_kind:     hidden_group_size_x
      - .offset:         94
        .size:           2
        .value_kind:     hidden_group_size_y
      - .offset:         96
        .size:           2
        .value_kind:     hidden_group_size_z
      - .offset:         98
        .size:           2
        .value_kind:     hidden_remainder_x
      - .offset:         100
        .size:           2
        .value_kind:     hidden_remainder_y
      - .offset:         102
        .size:           2
        .value_kind:     hidden_remainder_z
      - .offset:         120
        .size:           8
        .value_kind:     hidden_global_offset_x
      - .offset:         128
        .size:           8
        .value_kind:     hidden_global_offset_y
      - .offset:         136
        .size:           8
        .value_kind:     hidden_global_offset_z
      - .offset:         144
        .size:           2
        .value_kind:     hidden_grid_dims
    .group_segment_fixed_size: 0
    .kernarg_segment_align: 8
    .kernarg_segment_size: 336
    .language:       OpenCL C
    .language_version:
      - 2
      - 0
    .max_flat_workgroup_size: 512
    .name:           _ZL33flash_attn_stream_k_fixup_generalILi512ELi8ELi4EEvPfPK15HIP_vector_typeIfLj2EEiiiiS1_IjLj3EES5_S5_S5_
    .private_segment_fixed_size: 0
    .sgpr_count:     33
    .sgpr_spill_count: 0
    .symbol:         _ZL33flash_attn_stream_k_fixup_generalILi512ELi8ELi4EEvPfPK15HIP_vector_typeIfLj2EEiiiiS1_IjLj3EES5_S5_S5_.kd
    .uniform_work_group_size: 1
    .uses_dynamic_stack: false
    .vgpr_count:     17
    .vgpr_spill_count: 0
    .wavefront_size: 32
    .workgroup_processor_mode: 1
  - .args:
      - .address_space:  global
        .offset:         0
        .size:           8
        .value_kind:     global_buffer
      - .address_space:  global
        .offset:         8
        .size:           8
        .value_kind:     global_buffer
      - .address_space:  global
        .offset:         16
        .size:           8
        .value_kind:     global_buffer
      - .address_space:  global
        .offset:         24
        .size:           8
        .value_kind:     global_buffer
      - .address_space:  global
        .offset:         32
        .size:           8
        .value_kind:     global_buffer
      - .address_space:  global
        .offset:         40
        .size:           8
        .value_kind:     global_buffer
      - .address_space:  global
        .offset:         48
        .size:           8
        .value_kind:     global_buffer
      - .address_space:  global
        .offset:         56
        .size:           8
        .value_kind:     global_buffer
      - .offset:         64
        .size:           4
        .value_kind:     by_value
      - .offset:         68
        .size:           4
        .value_kind:     by_value
      - .offset:         72
        .size:           4
        .value_kind:     by_value
      - .offset:         76
        .size:           4
        .value_kind:     by_value
      - .offset:         80
        .size:           4
        .value_kind:     by_value
      - .offset:         84
        .size:           4
        .value_kind:     by_value
      - .offset:         88
        .size:           4
        .value_kind:     by_value
      - .offset:         92
        .size:           12
        .value_kind:     by_value
      - .offset:         104
        .size:           4
        .value_kind:     by_value
      - .offset:         108
        .size:           4
        .value_kind:     by_value
      - .offset:         112
        .size:           4
        .value_kind:     by_value
      - .offset:         116
        .size:           4
        .value_kind:     by_value
      - .offset:         120
        .size:           4
        .value_kind:     by_value
      - .offset:         124
        .size:           4
        .value_kind:     by_value
      - .offset:         128
        .size:           4
        .value_kind:     by_value
      - .offset:         132
        .size:           4
        .value_kind:     by_value
      - .offset:         136
        .size:           4
        .value_kind:     by_value
      - .offset:         140
        .size:           4
        .value_kind:     by_value
      - .offset:         144
        .size:           4
        .value_kind:     by_value
      - .offset:         152
        .size:           8
        .value_kind:     by_value
      - .offset:         160
        .size:           4
        .value_kind:     by_value
      - .offset:         164
        .size:           4
        .value_kind:     by_value
      - .offset:         168
        .size:           8
        .value_kind:     by_value
      - .offset:         176
        .size:           4
        .value_kind:     by_value
      - .offset:         180
        .size:           4
        .value_kind:     by_value
      - .offset:         184
        .size:           4
        .value_kind:     by_value
      - .offset:         188
        .size:           4
        .value_kind:     by_value
      - .offset:         192
        .size:           4
        .value_kind:     by_value
      - .offset:         200
        .size:           8
        .value_kind:     by_value
      - .offset:         208
        .size:           4
        .value_kind:     hidden_block_count_x
      - .offset:         212
        .size:           4
        .value_kind:     hidden_block_count_y
      - .offset:         216
        .size:           4
        .value_kind:     hidden_block_count_z
      - .offset:         220
        .size:           2
        .value_kind:     hidden_group_size_x
      - .offset:         222
        .size:           2
        .value_kind:     hidden_group_size_y
      - .offset:         224
        .size:           2
        .value_kind:     hidden_group_size_z
      - .offset:         226
        .size:           2
        .value_kind:     hidden_remainder_x
      - .offset:         228
        .size:           2
        .value_kind:     hidden_remainder_y
      - .offset:         230
        .size:           2
        .value_kind:     hidden_remainder_z
      - .offset:         248
        .size:           8
        .value_kind:     hidden_global_offset_x
      - .offset:         256
        .size:           8
        .value_kind:     hidden_global_offset_y
      - .offset:         264
        .size:           8
        .value_kind:     hidden_global_offset_z
      - .offset:         272
        .size:           2
        .value_kind:     hidden_grid_dims
    .group_segment_fixed_size: 29696
    .kernarg_segment_align: 8
    .kernarg_segment_size: 464
    .language:       OpenCL C
    .language_version:
      - 2
      - 0
    .max_flat_workgroup_size: 256
    .name:           _ZL15flash_attn_tileILi576ELi512ELi4ELi4ELb0EEvPKcS1_S1_S1_S1_PKiPfP15HIP_vector_typeIfLj2EEffffjfiS5_IjLj3EEiiiiiiiiiiiliiliiiiil
    .private_segment_fixed_size: 0
    .sgpr_count:     50
    .sgpr_spill_count: 0
    .symbol:         _ZL15flash_attn_tileILi576ELi512ELi4ELi4ELb0EEvPKcS1_S1_S1_S1_PKiPfP15HIP_vector_typeIfLj2EEffffjfiS5_IjLj3EEiiiiiiiiiiiliiliiiiil.kd
    .uniform_work_group_size: 1
    .uses_dynamic_stack: false
    .vgpr_count:     125
    .vgpr_spill_count: 0
    .wavefront_size: 32
    .workgroup_processor_mode: 1
  - .args:
      - .actual_access:  read_only
        .address_space:  global
        .offset:         0
        .size:           8
        .value_kind:     global_buffer
      - .actual_access:  write_only
        .address_space:  global
        .offset:         8
        .size:           8
        .value_kind:     global_buffer
      - .offset:         16
        .size:           4
        .value_kind:     by_value
      - .offset:         20
        .size:           4
        .value_kind:     by_value
      - .offset:         24
        .size:           4
        .value_kind:     by_value
      - .offset:         32
        .size:           4
        .value_kind:     hidden_block_count_x
      - .offset:         36
        .size:           4
        .value_kind:     hidden_block_count_y
      - .offset:         40
        .size:           4
        .value_kind:     hidden_block_count_z
      - .offset:         44
        .size:           2
        .value_kind:     hidden_group_size_x
      - .offset:         46
        .size:           2
        .value_kind:     hidden_group_size_y
      - .offset:         48
        .size:           2
        .value_kind:     hidden_group_size_z
      - .offset:         50
        .size:           2
        .value_kind:     hidden_remainder_x
      - .offset:         52
        .size:           2
        .value_kind:     hidden_remainder_y
      - .offset:         54
        .size:           2
        .value_kind:     hidden_remainder_z
      - .offset:         72
        .size:           8
        .value_kind:     hidden_global_offset_x
      - .offset:         80
        .size:           8
        .value_kind:     hidden_global_offset_y
      - .offset:         88
        .size:           8
        .value_kind:     hidden_global_offset_z
      - .offset:         96
        .size:           2
        .value_kind:     hidden_grid_dims
    .group_segment_fixed_size: 128
    .kernarg_segment_align: 8
    .kernarg_segment_size: 288
    .language:       OpenCL C
    .language_version:
      - 2
      - 0
    .max_flat_workgroup_size: 128
    .name:           _ZL25flash_attn_mask_to_KV_maxILi4EEvPK7__half2Piiii
    .private_segment_fixed_size: 0
    .sgpr_count:     21
    .sgpr_spill_count: 0
    .symbol:         _ZL25flash_attn_mask_to_KV_maxILi4EEvPK7__half2Piiii.kd
    .uniform_work_group_size: 1
    .uses_dynamic_stack: false
    .vgpr_count:     10
    .vgpr_spill_count: 0
    .wavefront_size: 32
    .workgroup_processor_mode: 1
  - .args:
      - .address_space:  global
        .offset:         0
        .size:           8
        .value_kind:     global_buffer
      - .address_space:  global
        .offset:         8
        .size:           8
        .value_kind:     global_buffer
      - .offset:         16
        .size:           4
        .value_kind:     by_value
      - .offset:         20
        .size:           4
        .value_kind:     by_value
      - .offset:         24
        .size:           4
        .value_kind:     by_value
      - .offset:         28
        .size:           4
        .value_kind:     by_value
      - .offset:         32
        .size:           4
        .value_kind:     by_value
      - .offset:         36
        .size:           4
        .value_kind:     by_value
      - .offset:         40
        .size:           12
        .value_kind:     by_value
      - .offset:         52
        .size:           12
        .value_kind:     by_value
      - .offset:         64
        .size:           12
        .value_kind:     by_value
    .group_segment_fixed_size: 0
    .kernarg_segment_align: 8
    .kernarg_segment_size: 76
    .language:       OpenCL C
    .language_version:
      - 2
      - 0
    .max_flat_workgroup_size: 512
    .name:           _ZL33flash_attn_stream_k_fixup_uniformILi512ELi4ELi4EEvPfPK15HIP_vector_typeIfLj2EEiiiiiiS1_IjLj3EES5_S5_
    .private_segment_fixed_size: 0
    .sgpr_count:     26
    .sgpr_spill_count: 0
    .symbol:         _ZL33flash_attn_stream_k_fixup_uniformILi512ELi4ELi4EEvPfPK15HIP_vector_typeIfLj2EEiiiiiiS1_IjLj3EES5_S5_.kd
    .uniform_work_group_size: 1
    .uses_dynamic_stack: false
    .vgpr_count:     15
    .vgpr_spill_count: 0
    .wavefront_size: 32
    .workgroup_processor_mode: 1
  - .args:
      - .address_space:  global
        .offset:         0
        .size:           8
        .value_kind:     global_buffer
      - .address_space:  global
        .offset:         8
        .size:           8
        .value_kind:     global_buffer
      - .offset:         16
        .size:           4
        .value_kind:     by_value
      - .offset:         20
        .size:           4
        .value_kind:     by_value
      - .offset:         24
        .size:           4
        .value_kind:     by_value
      - .offset:         28
        .size:           4
        .value_kind:     by_value
      - .offset:         32
        .size:           12
        .value_kind:     by_value
      - .offset:         44
        .size:           12
        .value_kind:     by_value
      - .offset:         56
        .size:           12
        .value_kind:     by_value
      - .offset:         68
        .size:           12
        .value_kind:     by_value
      - .offset:         80
        .size:           4
        .value_kind:     hidden_block_count_x
      - .offset:         84
        .size:           4
        .value_kind:     hidden_block_count_y
      - .offset:         88
        .size:           4
        .value_kind:     hidden_block_count_z
      - .offset:         92
        .size:           2
        .value_kind:     hidden_group_size_x
      - .offset:         94
        .size:           2
        .value_kind:     hidden_group_size_y
      - .offset:         96
        .size:           2
        .value_kind:     hidden_group_size_z
      - .offset:         98
        .size:           2
        .value_kind:     hidden_remainder_x
      - .offset:         100
        .size:           2
        .value_kind:     hidden_remainder_y
      - .offset:         102
        .size:           2
        .value_kind:     hidden_remainder_z
      - .offset:         120
        .size:           8
        .value_kind:     hidden_global_offset_x
      - .offset:         128
        .size:           8
        .value_kind:     hidden_global_offset_y
      - .offset:         136
        .size:           8
        .value_kind:     hidden_global_offset_z
      - .offset:         144
        .size:           2
        .value_kind:     hidden_grid_dims
    .group_segment_fixed_size: 0
    .kernarg_segment_align: 8
    .kernarg_segment_size: 336
    .language:       OpenCL C
    .language_version:
      - 2
      - 0
    .max_flat_workgroup_size: 512
    .name:           _ZL33flash_attn_stream_k_fixup_generalILi512ELi4ELi4EEvPfPK15HIP_vector_typeIfLj2EEiiiiS1_IjLj3EES5_S5_S5_
    .private_segment_fixed_size: 0
    .sgpr_count:     33
    .sgpr_spill_count: 0
    .symbol:         _ZL33flash_attn_stream_k_fixup_generalILi512ELi4ELi4EEvPfPK15HIP_vector_typeIfLj2EEiiiiS1_IjLj3EES5_S5_S5_.kd
    .uniform_work_group_size: 1
    .uses_dynamic_stack: false
    .vgpr_count:     17
    .vgpr_spill_count: 0
    .wavefront_size: 32
    .workgroup_processor_mode: 1
  - .args:
      - .address_space:  global
        .offset:         0
        .size:           8
        .value_kind:     global_buffer
      - .address_space:  global
        .offset:         8
        .size:           8
        .value_kind:     global_buffer
      - .address_space:  global
        .offset:         16
        .size:           8
        .value_kind:     global_buffer
      - .address_space:  global
        .offset:         24
        .size:           8
        .value_kind:     global_buffer
      - .address_space:  global
        .offset:         32
        .size:           8
        .value_kind:     global_buffer
      - .address_space:  global
        .offset:         40
        .size:           8
        .value_kind:     global_buffer
      - .address_space:  global
        .offset:         48
        .size:           8
        .value_kind:     global_buffer
      - .address_space:  global
        .offset:         56
        .size:           8
        .value_kind:     global_buffer
      - .offset:         64
        .size:           4
        .value_kind:     by_value
      - .offset:         68
        .size:           4
        .value_kind:     by_value
      - .offset:         72
        .size:           4
        .value_kind:     by_value
      - .offset:         76
        .size:           4
        .value_kind:     by_value
      - .offset:         80
        .size:           4
        .value_kind:     by_value
      - .offset:         84
        .size:           4
        .value_kind:     by_value
      - .offset:         88
        .size:           4
        .value_kind:     by_value
      - .offset:         92
        .size:           12
        .value_kind:     by_value
      - .offset:         104
        .size:           4
        .value_kind:     by_value
      - .offset:         108
        .size:           4
        .value_kind:     by_value
      - .offset:         112
        .size:           4
        .value_kind:     by_value
      - .offset:         116
        .size:           4
        .value_kind:     by_value
      - .offset:         120
        .size:           4
        .value_kind:     by_value
      - .offset:         124
        .size:           4
        .value_kind:     by_value
      - .offset:         128
        .size:           4
        .value_kind:     by_value
      - .offset:         132
        .size:           4
        .value_kind:     by_value
      - .offset:         136
        .size:           4
        .value_kind:     by_value
      - .offset:         140
        .size:           4
        .value_kind:     by_value
      - .offset:         144
        .size:           4
        .value_kind:     by_value
      - .offset:         152
        .size:           8
        .value_kind:     by_value
      - .offset:         160
        .size:           4
        .value_kind:     by_value
      - .offset:         164
        .size:           4
        .value_kind:     by_value
      - .offset:         168
        .size:           8
        .value_kind:     by_value
      - .offset:         176
        .size:           4
        .value_kind:     by_value
      - .offset:         180
        .size:           4
        .value_kind:     by_value
      - .offset:         184
        .size:           4
        .value_kind:     by_value
      - .offset:         188
        .size:           4
        .value_kind:     by_value
      - .offset:         192
        .size:           4
        .value_kind:     by_value
      - .offset:         200
        .size:           8
        .value_kind:     by_value
      - .offset:         208
        .size:           4
        .value_kind:     hidden_block_count_x
      - .offset:         212
        .size:           4
        .value_kind:     hidden_block_count_y
      - .offset:         216
        .size:           4
        .value_kind:     hidden_block_count_z
      - .offset:         220
        .size:           2
        .value_kind:     hidden_group_size_x
      - .offset:         222
        .size:           2
        .value_kind:     hidden_group_size_y
      - .offset:         224
        .size:           2
        .value_kind:     hidden_group_size_z
      - .offset:         226
        .size:           2
        .value_kind:     hidden_remainder_x
      - .offset:         228
        .size:           2
        .value_kind:     hidden_remainder_y
      - .offset:         230
        .size:           2
        .value_kind:     hidden_remainder_z
      - .offset:         248
        .size:           8
        .value_kind:     hidden_global_offset_x
      - .offset:         256
        .size:           8
        .value_kind:     hidden_global_offset_y
      - .offset:         264
        .size:           8
        .value_kind:     hidden_global_offset_z
      - .offset:         272
        .size:           2
        .value_kind:     hidden_grid_dims
    .group_segment_fixed_size: 19456
    .kernarg_segment_align: 8
    .kernarg_segment_size: 464
    .language:       OpenCL C
    .language_version:
      - 2
      - 0
    .max_flat_workgroup_size: 256
    .name:           _ZL15flash_attn_tileILi576ELi512ELi2ELi4ELb0EEvPKcS1_S1_S1_S1_PKiPfP15HIP_vector_typeIfLj2EEffffjfiS5_IjLj3EEiiiiiiiiiiiliiliiiiil
    .private_segment_fixed_size: 0
    .sgpr_count:     42
    .sgpr_spill_count: 0
    .symbol:         _ZL15flash_attn_tileILi576ELi512ELi2ELi4ELb0EEvPKcS1_S1_S1_S1_PKiPfP15HIP_vector_typeIfLj2EEffffjfiS5_IjLj3EEiiiiiiiiiiiliiliiiiil.kd
    .uniform_work_group_size: 1
    .uses_dynamic_stack: false
    .vgpr_count:     82
    .vgpr_spill_count: 0
    .wavefront_size: 32
    .workgroup_processor_mode: 1
  - .args:
      - .address_space:  global
        .offset:         0
        .size:           8
        .value_kind:     global_buffer
      - .address_space:  global
        .offset:         8
        .size:           8
        .value_kind:     global_buffer
      - .offset:         16
        .size:           4
        .value_kind:     by_value
      - .offset:         20
        .size:           4
        .value_kind:     by_value
      - .offset:         24
        .size:           4
        .value_kind:     by_value
      - .offset:         28
        .size:           4
        .value_kind:     by_value
      - .offset:         32
        .size:           4
        .value_kind:     by_value
      - .offset:         36
        .size:           4
        .value_kind:     by_value
      - .offset:         40
        .size:           12
        .value_kind:     by_value
      - .offset:         52
        .size:           12
        .value_kind:     by_value
      - .offset:         64
        .size:           12
        .value_kind:     by_value
    .group_segment_fixed_size: 0
    .kernarg_segment_align: 8
    .kernarg_segment_size: 76
    .language:       OpenCL C
    .language_version:
      - 2
      - 0
    .max_flat_workgroup_size: 512
    .name:           _ZL33flash_attn_stream_k_fixup_uniformILi512ELi2ELi4EEvPfPK15HIP_vector_typeIfLj2EEiiiiiiS1_IjLj3EES5_S5_
    .private_segment_fixed_size: 0
    .sgpr_count:     26
    .sgpr_spill_count: 0
    .symbol:         _ZL33flash_attn_stream_k_fixup_uniformILi512ELi2ELi4EEvPfPK15HIP_vector_typeIfLj2EEiiiiiiS1_IjLj3EES5_S5_.kd
    .uniform_work_group_size: 1
    .uses_dynamic_stack: false
    .vgpr_count:     15
    .vgpr_spill_count: 0
    .wavefront_size: 32
    .workgroup_processor_mode: 1
  - .args:
      - .address_space:  global
        .offset:         0
        .size:           8
        .value_kind:     global_buffer
      - .address_space:  global
        .offset:         8
        .size:           8
        .value_kind:     global_buffer
      - .offset:         16
        .size:           4
        .value_kind:     by_value
      - .offset:         20
        .size:           4
        .value_kind:     by_value
      - .offset:         24
        .size:           4
        .value_kind:     by_value
      - .offset:         28
        .size:           4
        .value_kind:     by_value
      - .offset:         32
        .size:           12
        .value_kind:     by_value
      - .offset:         44
        .size:           12
        .value_kind:     by_value
      - .offset:         56
        .size:           12
        .value_kind:     by_value
      - .offset:         68
        .size:           12
        .value_kind:     by_value
      - .offset:         80
        .size:           4
        .value_kind:     hidden_block_count_x
      - .offset:         84
        .size:           4
        .value_kind:     hidden_block_count_y
      - .offset:         88
        .size:           4
        .value_kind:     hidden_block_count_z
      - .offset:         92
        .size:           2
        .value_kind:     hidden_group_size_x
      - .offset:         94
        .size:           2
        .value_kind:     hidden_group_size_y
      - .offset:         96
        .size:           2
        .value_kind:     hidden_group_size_z
      - .offset:         98
        .size:           2
        .value_kind:     hidden_remainder_x
      - .offset:         100
        .size:           2
        .value_kind:     hidden_remainder_y
      - .offset:         102
        .size:           2
        .value_kind:     hidden_remainder_z
      - .offset:         120
        .size:           8
        .value_kind:     hidden_global_offset_x
      - .offset:         128
        .size:           8
        .value_kind:     hidden_global_offset_y
      - .offset:         136
        .size:           8
        .value_kind:     hidden_global_offset_z
      - .offset:         144
        .size:           2
        .value_kind:     hidden_grid_dims
    .group_segment_fixed_size: 0
    .kernarg_segment_align: 8
    .kernarg_segment_size: 336
    .language:       OpenCL C
    .language_version:
      - 2
      - 0
    .max_flat_workgroup_size: 512
    .name:           _ZL33flash_attn_stream_k_fixup_generalILi512ELi2ELi4EEvPfPK15HIP_vector_typeIfLj2EEiiiiS1_IjLj3EES5_S5_S5_
    .private_segment_fixed_size: 0
    .sgpr_count:     33
    .sgpr_spill_count: 0
    .symbol:         _ZL33flash_attn_stream_k_fixup_generalILi512ELi2ELi4EEvPfPK15HIP_vector_typeIfLj2EEiiiiS1_IjLj3EES5_S5_S5_.kd
    .uniform_work_group_size: 1
    .uses_dynamic_stack: false
    .vgpr_count:     17
    .vgpr_spill_count: 0
    .wavefront_size: 32
    .workgroup_processor_mode: 1
  - .args:
      - .address_space:  global
        .offset:         0
        .size:           8
        .value_kind:     global_buffer
      - .address_space:  global
        .offset:         8
        .size:           8
        .value_kind:     global_buffer
      - .address_space:  global
        .offset:         16
        .size:           8
        .value_kind:     global_buffer
      - .address_space:  global
        .offset:         24
        .size:           8
        .value_kind:     global_buffer
      - .address_space:  global
        .offset:         32
        .size:           8
        .value_kind:     global_buffer
      - .address_space:  global
        .offset:         40
        .size:           8
        .value_kind:     global_buffer
      - .address_space:  global
        .offset:         48
        .size:           8
        .value_kind:     global_buffer
      - .address_space:  global
        .offset:         56
        .size:           8
        .value_kind:     global_buffer
      - .offset:         64
        .size:           4
        .value_kind:     by_value
      - .offset:         68
        .size:           4
        .value_kind:     by_value
      - .offset:         72
        .size:           4
        .value_kind:     by_value
      - .offset:         76
        .size:           4
        .value_kind:     by_value
      - .offset:         80
        .size:           4
        .value_kind:     by_value
      - .offset:         84
        .size:           4
        .value_kind:     by_value
      - .offset:         88
        .size:           4
        .value_kind:     by_value
      - .offset:         92
        .size:           12
        .value_kind:     by_value
      - .offset:         104
        .size:           4
        .value_kind:     by_value
      - .offset:         108
        .size:           4
        .value_kind:     by_value
      - .offset:         112
        .size:           4
        .value_kind:     by_value
      - .offset:         116
        .size:           4
        .value_kind:     by_value
      - .offset:         120
        .size:           4
        .value_kind:     by_value
      - .offset:         124
        .size:           4
        .value_kind:     by_value
      - .offset:         128
        .size:           4
        .value_kind:     by_value
      - .offset:         132
        .size:           4
        .value_kind:     by_value
      - .offset:         136
        .size:           4
        .value_kind:     by_value
      - .offset:         140
        .size:           4
        .value_kind:     by_value
      - .offset:         144
        .size:           4
        .value_kind:     by_value
      - .offset:         152
        .size:           8
        .value_kind:     by_value
      - .offset:         160
        .size:           4
        .value_kind:     by_value
      - .offset:         164
        .size:           4
        .value_kind:     by_value
      - .offset:         168
        .size:           8
        .value_kind:     by_value
      - .offset:         176
        .size:           4
        .value_kind:     by_value
      - .offset:         180
        .size:           4
        .value_kind:     by_value
      - .offset:         184
        .size:           4
        .value_kind:     by_value
      - .offset:         188
        .size:           4
        .value_kind:     by_value
      - .offset:         192
        .size:           4
        .value_kind:     by_value
      - .offset:         200
        .size:           8
        .value_kind:     by_value
      - .offset:         208
        .size:           4
        .value_kind:     hidden_block_count_x
      - .offset:         212
        .size:           4
        .value_kind:     hidden_block_count_y
      - .offset:         216
        .size:           4
        .value_kind:     hidden_block_count_z
      - .offset:         220
        .size:           2
        .value_kind:     hidden_group_size_x
      - .offset:         222
        .size:           2
        .value_kind:     hidden_group_size_y
      - .offset:         224
        .size:           2
        .value_kind:     hidden_group_size_z
      - .offset:         226
        .size:           2
        .value_kind:     hidden_remainder_x
      - .offset:         228
        .size:           2
        .value_kind:     hidden_remainder_y
      - .offset:         230
        .size:           2
        .value_kind:     hidden_remainder_z
      - .offset:         248
        .size:           8
        .value_kind:     hidden_global_offset_x
      - .offset:         256
        .size:           8
        .value_kind:     hidden_global_offset_y
      - .offset:         264
        .size:           8
        .value_kind:     hidden_global_offset_z
      - .offset:         272
        .size:           2
        .value_kind:     hidden_grid_dims
    .group_segment_fixed_size: 14336
    .kernarg_segment_align: 8
    .kernarg_segment_size: 464
    .language:       OpenCL C
    .language_version:
      - 2
      - 0
    .max_flat_workgroup_size: 128
    .name:           _ZL15flash_attn_tileILi576ELi512ELi1ELi4ELb0EEvPKcS1_S1_S1_S1_PKiPfP15HIP_vector_typeIfLj2EEffffjfiS5_IjLj3EEiiiiiiiiiiiliiliiiiil
    .private_segment_fixed_size: 0
    .sgpr_count:     43
    .sgpr_spill_count: 0
    .symbol:         _ZL15flash_attn_tileILi576ELi512ELi1ELi4ELb0EEvPKcS1_S1_S1_S1_PKiPfP15HIP_vector_typeIfLj2EEffffjfiS5_IjLj3EEiiiiiiiiiiiliiliiiiil.kd
    .uniform_work_group_size: 1
    .uses_dynamic_stack: false
    .vgpr_count:     115
    .vgpr_spill_count: 0
    .wavefront_size: 32
    .workgroup_processor_mode: 1
  - .args:
      - .address_space:  global
        .offset:         0
        .size:           8
        .value_kind:     global_buffer
      - .address_space:  global
        .offset:         8
        .size:           8
        .value_kind:     global_buffer
      - .offset:         16
        .size:           4
        .value_kind:     by_value
      - .offset:         20
        .size:           4
        .value_kind:     by_value
      - .offset:         24
        .size:           4
        .value_kind:     by_value
      - .offset:         28
        .size:           4
        .value_kind:     by_value
      - .offset:         32
        .size:           4
        .value_kind:     by_value
      - .offset:         36
        .size:           4
        .value_kind:     by_value
      - .offset:         40
        .size:           12
        .value_kind:     by_value
      - .offset:         52
        .size:           12
        .value_kind:     by_value
      - .offset:         64
        .size:           12
        .value_kind:     by_value
    .group_segment_fixed_size: 0
    .kernarg_segment_align: 8
    .kernarg_segment_size: 76
    .language:       OpenCL C
    .language_version:
      - 2
      - 0
    .max_flat_workgroup_size: 512
    .name:           _ZL33flash_attn_stream_k_fixup_uniformILi512ELi1ELi4EEvPfPK15HIP_vector_typeIfLj2EEiiiiiiS1_IjLj3EES5_S5_
    .private_segment_fixed_size: 0
    .sgpr_count:     22
    .sgpr_spill_count: 0
    .symbol:         _ZL33flash_attn_stream_k_fixup_uniformILi512ELi1ELi4EEvPfPK15HIP_vector_typeIfLj2EEiiiiiiS1_IjLj3EES5_S5_.kd
    .uniform_work_group_size: 1
    .uses_dynamic_stack: false
    .vgpr_count:     15
    .vgpr_spill_count: 0
    .wavefront_size: 32
    .workgroup_processor_mode: 1
  - .args:
      - .address_space:  global
        .offset:         0
        .size:           8
        .value_kind:     global_buffer
      - .address_space:  global
        .offset:         8
        .size:           8
        .value_kind:     global_buffer
      - .offset:         16
        .size:           4
        .value_kind:     by_value
      - .offset:         20
        .size:           4
        .value_kind:     by_value
      - .offset:         24
        .size:           4
        .value_kind:     by_value
      - .offset:         28
        .size:           4
        .value_kind:     by_value
      - .offset:         32
        .size:           12
        .value_kind:     by_value
      - .offset:         44
        .size:           12
        .value_kind:     by_value
      - .offset:         56
        .size:           12
        .value_kind:     by_value
      - .offset:         68
        .size:           12
        .value_kind:     by_value
      - .offset:         80
        .size:           4
        .value_kind:     hidden_block_count_x
      - .offset:         84
        .size:           4
        .value_kind:     hidden_block_count_y
      - .offset:         88
        .size:           4
        .value_kind:     hidden_block_count_z
      - .offset:         92
        .size:           2
        .value_kind:     hidden_group_size_x
      - .offset:         94
        .size:           2
        .value_kind:     hidden_group_size_y
      - .offset:         96
        .size:           2
        .value_kind:     hidden_group_size_z
      - .offset:         98
        .size:           2
        .value_kind:     hidden_remainder_x
      - .offset:         100
        .size:           2
        .value_kind:     hidden_remainder_y
      - .offset:         102
        .size:           2
        .value_kind:     hidden_remainder_z
      - .offset:         120
        .size:           8
        .value_kind:     hidden_global_offset_x
      - .offset:         128
        .size:           8
        .value_kind:     hidden_global_offset_y
      - .offset:         136
        .size:           8
        .value_kind:     hidden_global_offset_z
      - .offset:         144
        .size:           2
        .value_kind:     hidden_grid_dims
    .group_segment_fixed_size: 0
    .kernarg_segment_align: 8
    .kernarg_segment_size: 336
    .language:       OpenCL C
    .language_version:
      - 2
      - 0
    .max_flat_workgroup_size: 512
    .name:           _ZL33flash_attn_stream_k_fixup_generalILi512ELi1ELi4EEvPfPK15HIP_vector_typeIfLj2EEiiiiS1_IjLj3EES5_S5_S5_
    .private_segment_fixed_size: 0
    .sgpr_count:     34
    .sgpr_spill_count: 0
    .symbol:         _ZL33flash_attn_stream_k_fixup_generalILi512ELi1ELi4EEvPfPK15HIP_vector_typeIfLj2EEiiiiS1_IjLj3EES5_S5_S5_.kd
    .uniform_work_group_size: 1
    .uses_dynamic_stack: false
    .vgpr_count:     17
    .vgpr_spill_count: 0
    .wavefront_size: 32
    .workgroup_processor_mode: 1
  - .args:
      - .address_space:  global
        .offset:         0
        .size:           8
        .value_kind:     global_buffer
      - .address_space:  global
        .offset:         8
        .size:           8
        .value_kind:     global_buffer
      - .address_space:  global
        .offset:         16
        .size:           8
        .value_kind:     global_buffer
      - .address_space:  global
        .offset:         24
        .size:           8
        .value_kind:     global_buffer
      - .address_space:  global
        .offset:         32
        .size:           8
        .value_kind:     global_buffer
      - .address_space:  global
        .offset:         40
        .size:           8
        .value_kind:     global_buffer
      - .address_space:  global
        .offset:         48
        .size:           8
        .value_kind:     global_buffer
      - .address_space:  global
        .offset:         56
        .size:           8
        .value_kind:     global_buffer
      - .offset:         64
        .size:           4
        .value_kind:     by_value
      - .offset:         68
        .size:           4
        .value_kind:     by_value
      - .offset:         72
        .size:           4
        .value_kind:     by_value
      - .offset:         76
        .size:           4
        .value_kind:     by_value
      - .offset:         80
        .size:           4
        .value_kind:     by_value
      - .offset:         84
        .size:           4
        .value_kind:     by_value
      - .offset:         88
        .size:           4
        .value_kind:     by_value
      - .offset:         92
        .size:           12
        .value_kind:     by_value
      - .offset:         104
        .size:           4
        .value_kind:     by_value
      - .offset:         108
        .size:           4
        .value_kind:     by_value
      - .offset:         112
        .size:           4
        .value_kind:     by_value
      - .offset:         116
        .size:           4
        .value_kind:     by_value
      - .offset:         120
        .size:           4
        .value_kind:     by_value
      - .offset:         124
        .size:           4
        .value_kind:     by_value
      - .offset:         128
        .size:           4
        .value_kind:     by_value
      - .offset:         132
        .size:           4
        .value_kind:     by_value
      - .offset:         136
        .size:           4
        .value_kind:     by_value
      - .offset:         140
        .size:           4
        .value_kind:     by_value
      - .offset:         144
        .size:           4
        .value_kind:     by_value
      - .offset:         152
        .size:           8
        .value_kind:     by_value
      - .offset:         160
        .size:           4
        .value_kind:     by_value
      - .offset:         164
        .size:           4
        .value_kind:     by_value
      - .offset:         168
        .size:           8
        .value_kind:     by_value
      - .offset:         176
        .size:           4
        .value_kind:     by_value
      - .offset:         180
        .size:           4
        .value_kind:     by_value
      - .offset:         184
        .size:           4
        .value_kind:     by_value
      - .offset:         188
        .size:           4
        .value_kind:     by_value
      - .offset:         192
        .size:           4
        .value_kind:     by_value
      - .offset:         200
        .size:           8
        .value_kind:     by_value
      - .offset:         208
        .size:           4
        .value_kind:     hidden_block_count_x
      - .offset:         212
        .size:           4
        .value_kind:     hidden_block_count_y
      - .offset:         216
        .size:           4
        .value_kind:     hidden_block_count_z
      - .offset:         220
        .size:           2
        .value_kind:     hidden_group_size_x
      - .offset:         222
        .size:           2
        .value_kind:     hidden_group_size_y
      - .offset:         224
        .size:           2
        .value_kind:     hidden_group_size_z
      - .offset:         226
        .size:           2
        .value_kind:     hidden_remainder_x
      - .offset:         228
        .size:           2
        .value_kind:     hidden_remainder_y
      - .offset:         230
        .size:           2
        .value_kind:     hidden_remainder_z
      - .offset:         248
        .size:           8
        .value_kind:     hidden_global_offset_x
      - .offset:         256
        .size:           8
        .value_kind:     hidden_global_offset_y
      - .offset:         264
        .size:           8
        .value_kind:     hidden_global_offset_z
      - .offset:         272
        .size:           2
        .value_kind:     hidden_grid_dims
    .group_segment_fixed_size: 63488
    .kernarg_segment_align: 8
    .kernarg_segment_size: 464
    .language:       OpenCL C
    .language_version:
      - 2
      - 0
    .max_flat_workgroup_size: 256
    .name:           _ZL15flash_attn_tileILi576ELi512ELi2ELi16ELb1EEvPKcS1_S1_S1_S1_PKiPfP15HIP_vector_typeIfLj2EEffffjfiS5_IjLj3EEiiiiiiiiiiiliiliiiiil
    .private_segment_fixed_size: 0
    .sgpr_count:     43
    .sgpr_spill_count: 0
    .symbol:         _ZL15flash_attn_tileILi576ELi512ELi2ELi16ELb1EEvPKcS1_S1_S1_S1_PKiPfP15HIP_vector_typeIfLj2EEffffjfiS5_IjLj3EEiiiiiiiiiiiliiliiiiil.kd
    .uniform_work_group_size: 1
    .uses_dynamic_stack: false
    .vgpr_count:     203
    .vgpr_spill_count: 0
    .wavefront_size: 32
    .workgroup_processor_mode: 1
  - .args:
      - .address_space:  global
        .offset:         0
        .size:           8
        .value_kind:     global_buffer
      - .address_space:  global
        .offset:         8
        .size:           8
        .value_kind:     global_buffer
      - .address_space:  global
        .offset:         16
        .size:           8
        .value_kind:     global_buffer
      - .address_space:  global
        .offset:         24
        .size:           8
        .value_kind:     global_buffer
      - .address_space:  global
        .offset:         32
        .size:           8
        .value_kind:     global_buffer
      - .address_space:  global
        .offset:         40
        .size:           8
        .value_kind:     global_buffer
      - .address_space:  global
        .offset:         48
        .size:           8
        .value_kind:     global_buffer
      - .address_space:  global
        .offset:         56
        .size:           8
        .value_kind:     global_buffer
      - .offset:         64
        .size:           4
        .value_kind:     by_value
      - .offset:         68
        .size:           4
        .value_kind:     by_value
      - .offset:         72
        .size:           4
        .value_kind:     by_value
      - .offset:         76
        .size:           4
        .value_kind:     by_value
      - .offset:         80
        .size:           4
        .value_kind:     by_value
      - .offset:         84
        .size:           4
        .value_kind:     by_value
      - .offset:         88
        .size:           4
        .value_kind:     by_value
      - .offset:         92
        .size:           12
        .value_kind:     by_value
      - .offset:         104
        .size:           4
        .value_kind:     by_value
      - .offset:         108
        .size:           4
        .value_kind:     by_value
      - .offset:         112
        .size:           4
        .value_kind:     by_value
      - .offset:         116
        .size:           4
        .value_kind:     by_value
      - .offset:         120
        .size:           4
        .value_kind:     by_value
      - .offset:         124
        .size:           4
        .value_kind:     by_value
      - .offset:         128
        .size:           4
        .value_kind:     by_value
      - .offset:         132
        .size:           4
        .value_kind:     by_value
      - .offset:         136
        .size:           4
        .value_kind:     by_value
      - .offset:         140
        .size:           4
        .value_kind:     by_value
      - .offset:         144
        .size:           4
        .value_kind:     by_value
      - .offset:         152
        .size:           8
        .value_kind:     by_value
      - .offset:         160
        .size:           4
        .value_kind:     by_value
      - .offset:         164
        .size:           4
        .value_kind:     by_value
      - .offset:         168
        .size:           8
        .value_kind:     by_value
      - .offset:         176
        .size:           4
        .value_kind:     by_value
      - .offset:         180
        .size:           4
        .value_kind:     by_value
      - .offset:         184
        .size:           4
        .value_kind:     by_value
      - .offset:         188
        .size:           4
        .value_kind:     by_value
      - .offset:         192
        .size:           4
        .value_kind:     by_value
      - .offset:         200
        .size:           8
        .value_kind:     by_value
      - .offset:         208
        .size:           4
        .value_kind:     hidden_block_count_x
      - .offset:         212
        .size:           4
        .value_kind:     hidden_block_count_y
      - .offset:         216
        .size:           4
        .value_kind:     hidden_block_count_z
      - .offset:         220
        .size:           2
        .value_kind:     hidden_group_size_x
      - .offset:         222
        .size:           2
        .value_kind:     hidden_group_size_y
      - .offset:         224
        .size:           2
        .value_kind:     hidden_group_size_z
      - .offset:         226
        .size:           2
        .value_kind:     hidden_remainder_x
      - .offset:         228
        .size:           2
        .value_kind:     hidden_remainder_y
      - .offset:         230
        .size:           2
        .value_kind:     hidden_remainder_z
      - .offset:         248
        .size:           8
        .value_kind:     hidden_global_offset_x
      - .offset:         256
        .size:           8
        .value_kind:     hidden_global_offset_y
      - .offset:         264
        .size:           8
        .value_kind:     hidden_global_offset_z
      - .offset:         272
        .size:           2
        .value_kind:     hidden_grid_dims
    .group_segment_fixed_size: 29696
    .kernarg_segment_align: 8
    .kernarg_segment_size: 464
    .language:       OpenCL C
    .language_version:
      - 2
      - 0
    .max_flat_workgroup_size: 256
    .name:           _ZL15flash_attn_tileILi576ELi512ELi1ELi16ELb1EEvPKcS1_S1_S1_S1_PKiPfP15HIP_vector_typeIfLj2EEffffjfiS5_IjLj3EEiiiiiiiiiiiliiliiiiil
    .private_segment_fixed_size: 0
    .sgpr_count:     42
    .sgpr_spill_count: 0
    .symbol:         _ZL15flash_attn_tileILi576ELi512ELi1ELi16ELb1EEvPKcS1_S1_S1_S1_PKiPfP15HIP_vector_typeIfLj2EEffffjfiS5_IjLj3EEiiiiiiiiiiiliiliiiiil.kd
    .uniform_work_group_size: 1
    .uses_dynamic_stack: false
    .vgpr_count:     185
    .vgpr_spill_count: 0
    .wavefront_size: 32
    .workgroup_processor_mode: 1
  - .args:
      - .address_space:  global
        .offset:         0
        .size:           8
        .value_kind:     global_buffer
      - .address_space:  global
        .offset:         8
        .size:           8
        .value_kind:     global_buffer
      - .address_space:  global
        .offset:         16
        .size:           8
        .value_kind:     global_buffer
      - .address_space:  global
        .offset:         24
        .size:           8
        .value_kind:     global_buffer
      - .address_space:  global
        .offset:         32
        .size:           8
        .value_kind:     global_buffer
      - .address_space:  global
        .offset:         40
        .size:           8
        .value_kind:     global_buffer
      - .address_space:  global
        .offset:         48
        .size:           8
        .value_kind:     global_buffer
      - .address_space:  global
        .offset:         56
        .size:           8
        .value_kind:     global_buffer
      - .offset:         64
        .size:           4
        .value_kind:     by_value
      - .offset:         68
        .size:           4
        .value_kind:     by_value
      - .offset:         72
        .size:           4
        .value_kind:     by_value
      - .offset:         76
        .size:           4
        .value_kind:     by_value
      - .offset:         80
        .size:           4
        .value_kind:     by_value
      - .offset:         84
        .size:           4
        .value_kind:     by_value
      - .offset:         88
        .size:           4
        .value_kind:     by_value
      - .offset:         92
        .size:           12
        .value_kind:     by_value
      - .offset:         104
        .size:           4
        .value_kind:     by_value
      - .offset:         108
        .size:           4
        .value_kind:     by_value
      - .offset:         112
        .size:           4
        .value_kind:     by_value
      - .offset:         116
        .size:           4
        .value_kind:     by_value
      - .offset:         120
        .size:           4
        .value_kind:     by_value
      - .offset:         124
        .size:           4
        .value_kind:     by_value
      - .offset:         128
        .size:           4
        .value_kind:     by_value
      - .offset:         132
        .size:           4
        .value_kind:     by_value
      - .offset:         136
        .size:           4
        .value_kind:     by_value
      - .offset:         140
        .size:           4
        .value_kind:     by_value
      - .offset:         144
        .size:           4
        .value_kind:     by_value
      - .offset:         152
        .size:           8
        .value_kind:     by_value
      - .offset:         160
        .size:           4
        .value_kind:     by_value
      - .offset:         164
        .size:           4
        .value_kind:     by_value
      - .offset:         168
        .size:           8
        .value_kind:     by_value
      - .offset:         176
        .size:           4
        .value_kind:     by_value
      - .offset:         180
        .size:           4
        .value_kind:     by_value
      - .offset:         184
        .size:           4
        .value_kind:     by_value
      - .offset:         188
        .size:           4
        .value_kind:     by_value
      - .offset:         192
        .size:           4
        .value_kind:     by_value
      - .offset:         200
        .size:           8
        .value_kind:     by_value
      - .offset:         208
        .size:           4
        .value_kind:     hidden_block_count_x
      - .offset:         212
        .size:           4
        .value_kind:     hidden_block_count_y
      - .offset:         216
        .size:           4
        .value_kind:     hidden_block_count_z
      - .offset:         220
        .size:           2
        .value_kind:     hidden_group_size_x
      - .offset:         222
        .size:           2
        .value_kind:     hidden_group_size_y
      - .offset:         224
        .size:           2
        .value_kind:     hidden_group_size_z
      - .offset:         226
        .size:           2
        .value_kind:     hidden_remainder_x
      - .offset:         228
        .size:           2
        .value_kind:     hidden_remainder_y
      - .offset:         230
        .size:           2
        .value_kind:     hidden_remainder_z
      - .offset:         248
        .size:           8
        .value_kind:     hidden_global_offset_x
      - .offset:         256
        .size:           8
        .value_kind:     hidden_global_offset_y
      - .offset:         264
        .size:           8
        .value_kind:     hidden_global_offset_z
      - .offset:         272
        .size:           2
        .value_kind:     hidden_grid_dims
    .group_segment_fixed_size: 63488
    .kernarg_segment_align: 8
    .kernarg_segment_size: 464
    .language:       OpenCL C
    .language_version:
      - 2
      - 0
    .max_flat_workgroup_size: 256
    .name:           _ZL15flash_attn_tileILi576ELi512ELi8ELi4ELb1EEvPKcS1_S1_S1_S1_PKiPfP15HIP_vector_typeIfLj2EEffffjfiS5_IjLj3EEiiiiiiiiiiiliiliiiiil
    .private_segment_fixed_size: 0
    .sgpr_count:     43
    .sgpr_spill_count: 0
    .symbol:         _ZL15flash_attn_tileILi576ELi512ELi8ELi4ELb1EEvPKcS1_S1_S1_S1_PKiPfP15HIP_vector_typeIfLj2EEffffjfiS5_IjLj3EEiiiiiiiiiiiliiliiiiil.kd
    .uniform_work_group_size: 1
    .uses_dynamic_stack: false
    .vgpr_count:     202
    .vgpr_spill_count: 0
    .wavefront_size: 32
    .workgroup_processor_mode: 1
  - .args:
      - .address_space:  global
        .offset:         0
        .size:           8
        .value_kind:     global_buffer
      - .address_space:  global
        .offset:         8
        .size:           8
        .value_kind:     global_buffer
      - .address_space:  global
        .offset:         16
        .size:           8
        .value_kind:     global_buffer
      - .address_space:  global
        .offset:         24
        .size:           8
        .value_kind:     global_buffer
      - .address_space:  global
        .offset:         32
        .size:           8
        .value_kind:     global_buffer
      - .address_space:  global
        .offset:         40
        .size:           8
        .value_kind:     global_buffer
      - .address_space:  global
        .offset:         48
        .size:           8
        .value_kind:     global_buffer
      - .address_space:  global
        .offset:         56
        .size:           8
        .value_kind:     global_buffer
      - .offset:         64
        .size:           4
        .value_kind:     by_value
      - .offset:         68
        .size:           4
        .value_kind:     by_value
      - .offset:         72
        .size:           4
        .value_kind:     by_value
      - .offset:         76
        .size:           4
        .value_kind:     by_value
      - .offset:         80
        .size:           4
        .value_kind:     by_value
      - .offset:         84
        .size:           4
        .value_kind:     by_value
      - .offset:         88
        .size:           4
        .value_kind:     by_value
      - .offset:         92
        .size:           12
        .value_kind:     by_value
      - .offset:         104
        .size:           4
        .value_kind:     by_value
      - .offset:         108
        .size:           4
        .value_kind:     by_value
      - .offset:         112
        .size:           4
        .value_kind:     by_value
      - .offset:         116
        .size:           4
        .value_kind:     by_value
      - .offset:         120
        .size:           4
        .value_kind:     by_value
      - .offset:         124
        .size:           4
        .value_kind:     by_value
      - .offset:         128
        .size:           4
        .value_kind:     by_value
      - .offset:         132
        .size:           4
        .value_kind:     by_value
      - .offset:         136
        .size:           4
        .value_kind:     by_value
      - .offset:         140
        .size:           4
        .value_kind:     by_value
      - .offset:         144
        .size:           4
        .value_kind:     by_value
      - .offset:         152
        .size:           8
        .value_kind:     by_value
      - .offset:         160
        .size:           4
        .value_kind:     by_value
      - .offset:         164
        .size:           4
        .value_kind:     by_value
      - .offset:         168
        .size:           8
        .value_kind:     by_value
      - .offset:         176
        .size:           4
        .value_kind:     by_value
      - .offset:         180
        .size:           4
        .value_kind:     by_value
      - .offset:         184
        .size:           4
        .value_kind:     by_value
      - .offset:         188
        .size:           4
        .value_kind:     by_value
      - .offset:         192
        .size:           4
        .value_kind:     by_value
      - .offset:         200
        .size:           8
        .value_kind:     by_value
      - .offset:         208
        .size:           4
        .value_kind:     hidden_block_count_x
      - .offset:         212
        .size:           4
        .value_kind:     hidden_block_count_y
      - .offset:         216
        .size:           4
        .value_kind:     hidden_block_count_z
      - .offset:         220
        .size:           2
        .value_kind:     hidden_group_size_x
      - .offset:         222
        .size:           2
        .value_kind:     hidden_group_size_y
      - .offset:         224
        .size:           2
        .value_kind:     hidden_group_size_z
      - .offset:         226
        .size:           2
        .value_kind:     hidden_remainder_x
      - .offset:         228
        .size:           2
        .value_kind:     hidden_remainder_y
      - .offset:         230
        .size:           2
        .value_kind:     hidden_remainder_z
      - .offset:         248
        .size:           8
        .value_kind:     hidden_global_offset_x
      - .offset:         256
        .size:           8
        .value_kind:     hidden_global_offset_y
      - .offset:         264
        .size:           8
        .value_kind:     hidden_global_offset_z
      - .offset:         272
        .size:           2
        .value_kind:     hidden_grid_dims
    .group_segment_fixed_size: 29696
    .kernarg_segment_align: 8
    .kernarg_segment_size: 464
    .language:       OpenCL C
    .language_version:
      - 2
      - 0
    .max_flat_workgroup_size: 256
    .name:           _ZL15flash_attn_tileILi576ELi512ELi4ELi4ELb1EEvPKcS1_S1_S1_S1_PKiPfP15HIP_vector_typeIfLj2EEffffjfiS5_IjLj3EEiiiiiiiiiiiliiliiiiil
    .private_segment_fixed_size: 0
    .sgpr_count:     42
    .sgpr_spill_count: 0
    .symbol:         _ZL15flash_attn_tileILi576ELi512ELi4ELi4ELb1EEvPKcS1_S1_S1_S1_PKiPfP15HIP_vector_typeIfLj2EEffffjfiS5_IjLj3EEiiiiiiiiiiiliiliiiiil.kd
    .uniform_work_group_size: 1
    .uses_dynamic_stack: false
    .vgpr_count:     185
    .vgpr_spill_count: 0
    .wavefront_size: 32
    .workgroup_processor_mode: 1
  - .args:
      - .address_space:  global
        .offset:         0
        .size:           8
        .value_kind:     global_buffer
      - .address_space:  global
        .offset:         8
        .size:           8
        .value_kind:     global_buffer
      - .address_space:  global
        .offset:         16
        .size:           8
        .value_kind:     global_buffer
      - .address_space:  global
        .offset:         24
        .size:           8
        .value_kind:     global_buffer
      - .address_space:  global
        .offset:         32
        .size:           8
        .value_kind:     global_buffer
      - .address_space:  global
        .offset:         40
        .size:           8
        .value_kind:     global_buffer
      - .address_space:  global
        .offset:         48
        .size:           8
        .value_kind:     global_buffer
      - .address_space:  global
        .offset:         56
        .size:           8
        .value_kind:     global_buffer
      - .offset:         64
        .size:           4
        .value_kind:     by_value
      - .offset:         68
        .size:           4
        .value_kind:     by_value
      - .offset:         72
        .size:           4
        .value_kind:     by_value
      - .offset:         76
        .size:           4
        .value_kind:     by_value
      - .offset:         80
        .size:           4
        .value_kind:     by_value
      - .offset:         84
        .size:           4
        .value_kind:     by_value
      - .offset:         88
        .size:           4
        .value_kind:     by_value
      - .offset:         92
        .size:           12
        .value_kind:     by_value
      - .offset:         104
        .size:           4
        .value_kind:     by_value
      - .offset:         108
        .size:           4
        .value_kind:     by_value
      - .offset:         112
        .size:           4
        .value_kind:     by_value
      - .offset:         116
        .size:           4
        .value_kind:     by_value
      - .offset:         120
        .size:           4
        .value_kind:     by_value
      - .offset:         124
        .size:           4
        .value_kind:     by_value
      - .offset:         128
        .size:           4
        .value_kind:     by_value
      - .offset:         132
        .size:           4
        .value_kind:     by_value
      - .offset:         136
        .size:           4
        .value_kind:     by_value
      - .offset:         140
        .size:           4
        .value_kind:     by_value
      - .offset:         144
        .size:           4
        .value_kind:     by_value
      - .offset:         152
        .size:           8
        .value_kind:     by_value
      - .offset:         160
        .size:           4
        .value_kind:     by_value
      - .offset:         164
        .size:           4
        .value_kind:     by_value
      - .offset:         168
        .size:           8
        .value_kind:     by_value
      - .offset:         176
        .size:           4
        .value_kind:     by_value
      - .offset:         180
        .size:           4
        .value_kind:     by_value
      - .offset:         184
        .size:           4
        .value_kind:     by_value
      - .offset:         188
        .size:           4
        .value_kind:     by_value
      - .offset:         192
        .size:           4
        .value_kind:     by_value
      - .offset:         200
        .size:           8
        .value_kind:     by_value
      - .offset:         208
        .size:           4
        .value_kind:     hidden_block_count_x
      - .offset:         212
        .size:           4
        .value_kind:     hidden_block_count_y
      - .offset:         216
        .size:           4
        .value_kind:     hidden_block_count_z
      - .offset:         220
        .size:           2
        .value_kind:     hidden_group_size_x
      - .offset:         222
        .size:           2
        .value_kind:     hidden_group_size_y
      - .offset:         224
        .size:           2
        .value_kind:     hidden_group_size_z
      - .offset:         226
        .size:           2
        .value_kind:     hidden_remainder_x
      - .offset:         228
        .size:           2
        .value_kind:     hidden_remainder_y
      - .offset:         230
        .size:           2
        .value_kind:     hidden_remainder_z
      - .offset:         248
        .size:           8
        .value_kind:     hidden_global_offset_x
      - .offset:         256
        .size:           8
        .value_kind:     hidden_global_offset_y
      - .offset:         264
        .size:           8
        .value_kind:     hidden_global_offset_z
      - .offset:         272
        .size:           2
        .value_kind:     hidden_grid_dims
    .group_segment_fixed_size: 19456
    .kernarg_segment_align: 8
    .kernarg_segment_size: 464
    .language:       OpenCL C
    .language_version:
      - 2
      - 0
    .max_flat_workgroup_size: 256
    .name:           _ZL15flash_attn_tileILi576ELi512ELi2ELi4ELb1EEvPKcS1_S1_S1_S1_PKiPfP15HIP_vector_typeIfLj2EEffffjfiS5_IjLj3EEiiiiiiiiiiiliiliiiiil
    .private_segment_fixed_size: 0
    .sgpr_count:     42
    .sgpr_spill_count: 0
    .symbol:         _ZL15flash_attn_tileILi576ELi512ELi2ELi4ELb1EEvPKcS1_S1_S1_S1_PKiPfP15HIP_vector_typeIfLj2EEffffjfiS5_IjLj3EEiiiiiiiiiiiliiliiiiil.kd
    .uniform_work_group_size: 1
    .uses_dynamic_stack: false
    .vgpr_count:     107
    .vgpr_spill_count: 0
    .wavefront_size: 32
    .workgroup_processor_mode: 1
  - .args:
      - .address_space:  global
        .offset:         0
        .size:           8
        .value_kind:     global_buffer
      - .address_space:  global
        .offset:         8
        .size:           8
        .value_kind:     global_buffer
      - .address_space:  global
        .offset:         16
        .size:           8
        .value_kind:     global_buffer
      - .address_space:  global
        .offset:         24
        .size:           8
        .value_kind:     global_buffer
      - .address_space:  global
        .offset:         32
        .size:           8
        .value_kind:     global_buffer
      - .address_space:  global
        .offset:         40
        .size:           8
        .value_kind:     global_buffer
      - .address_space:  global
        .offset:         48
        .size:           8
        .value_kind:     global_buffer
      - .address_space:  global
        .offset:         56
        .size:           8
        .value_kind:     global_buffer
      - .offset:         64
        .size:           4
        .value_kind:     by_value
      - .offset:         68
        .size:           4
        .value_kind:     by_value
      - .offset:         72
        .size:           4
        .value_kind:     by_value
      - .offset:         76
        .size:           4
        .value_kind:     by_value
      - .offset:         80
        .size:           4
        .value_kind:     by_value
      - .offset:         84
        .size:           4
        .value_kind:     by_value
      - .offset:         88
        .size:           4
        .value_kind:     by_value
      - .offset:         92
        .size:           12
        .value_kind:     by_value
      - .offset:         104
        .size:           4
        .value_kind:     by_value
      - .offset:         108
        .size:           4
        .value_kind:     by_value
      - .offset:         112
        .size:           4
        .value_kind:     by_value
      - .offset:         116
        .size:           4
        .value_kind:     by_value
      - .offset:         120
        .size:           4
        .value_kind:     by_value
      - .offset:         124
        .size:           4
        .value_kind:     by_value
      - .offset:         128
        .size:           4
        .value_kind:     by_value
      - .offset:         132
        .size:           4
        .value_kind:     by_value
      - .offset:         136
        .size:           4
        .value_kind:     by_value
      - .offset:         140
        .size:           4
        .value_kind:     by_value
      - .offset:         144
        .size:           4
        .value_kind:     by_value
      - .offset:         152
        .size:           8
        .value_kind:     by_value
      - .offset:         160
        .size:           4
        .value_kind:     by_value
      - .offset:         164
        .size:           4
        .value_kind:     by_value
      - .offset:         168
        .size:           8
        .value_kind:     by_value
      - .offset:         176
        .size:           4
        .value_kind:     by_value
      - .offset:         180
        .size:           4
        .value_kind:     by_value
      - .offset:         184
        .size:           4
        .value_kind:     by_value
      - .offset:         188
        .size:           4
        .value_kind:     by_value
      - .offset:         192
        .size:           4
        .value_kind:     by_value
      - .offset:         200
        .size:           8
        .value_kind:     by_value
      - .offset:         208
        .size:           4
        .value_kind:     hidden_block_count_x
      - .offset:         212
        .size:           4
        .value_kind:     hidden_block_count_y
      - .offset:         216
        .size:           4
        .value_kind:     hidden_block_count_z
      - .offset:         220
        .size:           2
        .value_kind:     hidden_group_size_x
      - .offset:         222
        .size:           2
        .value_kind:     hidden_group_size_y
      - .offset:         224
        .size:           2
        .value_kind:     hidden_group_size_z
      - .offset:         226
        .size:           2
        .value_kind:     hidden_remainder_x
      - .offset:         228
        .size:           2
        .value_kind:     hidden_remainder_y
      - .offset:         230
        .size:           2
        .value_kind:     hidden_remainder_z
      - .offset:         248
        .size:           8
        .value_kind:     hidden_global_offset_x
      - .offset:         256
        .size:           8
        .value_kind:     hidden_global_offset_y
      - .offset:         264
        .size:           8
        .value_kind:     hidden_global_offset_z
      - .offset:         272
        .size:           2
        .value_kind:     hidden_grid_dims
    .group_segment_fixed_size: 14336
    .kernarg_segment_align: 8
    .kernarg_segment_size: 464
    .language:       OpenCL C
    .language_version:
      - 2
      - 0
    .max_flat_workgroup_size: 128
    .name:           _ZL15flash_attn_tileILi576ELi512ELi1ELi4ELb1EEvPKcS1_S1_S1_S1_PKiPfP15HIP_vector_typeIfLj2EEffffjfiS5_IjLj3EEiiiiiiiiiiiliiliiiiil
    .private_segment_fixed_size: 0
    .sgpr_count:     43
    .sgpr_spill_count: 0
    .symbol:         _ZL15flash_attn_tileILi576ELi512ELi1ELi4ELb1EEvPKcS1_S1_S1_S1_PKiPfP15HIP_vector_typeIfLj2EEffffjfiS5_IjLj3EEiiiiiiiiiiiliiliiiiil.kd
    .uniform_work_group_size: 1
    .uses_dynamic_stack: false
    .vgpr_count:     161
    .vgpr_spill_count: 0
    .wavefront_size: 32
    .workgroup_processor_mode: 1
amdhsa.target:   amdgcn-amd-amdhsa--gfx1030
amdhsa.version:
  - 1
  - 2
...

	.end_amdgpu_metadata
